;; amdgpu-corpus repo=ROCm/rocFFT kind=compiled arch=gfx906 opt=O3
	.text
	.amdgcn_target "amdgcn-amd-amdhsa--gfx906"
	.amdhsa_code_object_version 6
	.protected	bluestein_single_back_len672_dim1_dp_op_CI_CI ; -- Begin function bluestein_single_back_len672_dim1_dp_op_CI_CI
	.globl	bluestein_single_back_len672_dim1_dp_op_CI_CI
	.p2align	8
	.type	bluestein_single_back_len672_dim1_dp_op_CI_CI,@function
bluestein_single_back_len672_dim1_dp_op_CI_CI: ; @bluestein_single_back_len672_dim1_dp_op_CI_CI
; %bb.0:
	s_load_dwordx4 s[16:19], s[4:5], 0x28
	s_mov_b64 s[30:31], s[2:3]
	v_mul_u32_u24_e32 v1, 0x493, v0
	s_mov_b64 s[28:29], s[0:1]
	v_add_u32_sdwa v176, s6, v1 dst_sel:DWORD dst_unused:UNUSED_PAD src0_sel:DWORD src1_sel:WORD_1
	v_mov_b32_e32 v177, 0
	s_add_u32 s28, s28, s7
	s_waitcnt lgkmcnt(0)
	v_cmp_gt_u64_e32 vcc, s[16:17], v[176:177]
	s_addc_u32 s29, s29, 0
	s_and_saveexec_b64 s[0:1], vcc
	s_cbranch_execz .LBB0_10
; %bb.1:
	s_load_dwordx4 s[0:3], s[4:5], 0x18
	s_load_dwordx4 s[12:15], s[4:5], 0x0
	v_mov_b32_e32 v2, 56
	v_mul_lo_u16_sdwa v1, v1, v2 dst_sel:DWORD dst_unused:UNUSED_PAD src0_sel:WORD_1 src1_sel:DWORD
	v_sub_u16_e32 v214, v0, v1
	s_waitcnt lgkmcnt(0)
	s_load_dwordx4 s[8:11], s[0:1], 0x0
	v_lshlrev_b32_e32 v213, 4, v214
	s_movk_i32 s6, 0x1000
	v_or_b32_e32 v13, 0x1c0, v214
	v_lshlrev_b32_e32 v244, 5, v214
	s_waitcnt lgkmcnt(0)
	v_mad_u64_u32 v[0:1], s[0:1], s10, v176, 0
	v_mad_u64_u32 v[2:3], s[0:1], s8, v214, 0
	s_mul_hi_u32 s7, s8, 0xffffee80
	s_sub_i32 s7, s7, s8
	v_mad_u64_u32 v[4:5], s[0:1], s11, v176, v[1:2]
	v_and_b32_e32 v109, 1, v214
	v_and_b32_e32 v168, 31, v214
	v_mad_u64_u32 v[5:6], s[0:1], s9, v214, v[3:4]
	v_mov_b32_e32 v1, v4
	v_lshlrev_b64 v[0:1], 4, v[0:1]
	v_mov_b32_e32 v6, s19
	v_mov_b32_e32 v3, v5
	v_add_co_u32_e32 v7, vcc, s18, v0
	v_addc_co_u32_e32 v6, vcc, v6, v1, vcc
	v_lshlrev_b64 v[0:1], 4, v[2:3]
	v_mov_b32_e32 v2, s13
	v_add_co_u32_e32 v0, vcc, v7, v0
	v_addc_co_u32_e32 v1, vcc, v6, v1, vcc
	v_add_co_u32_e32 v14, vcc, s12, v213
	s_mul_i32 s0, s9, 0x1500
	s_mul_hi_u32 s1, s8, 0x1500
	v_addc_co_u32_e32 v15, vcc, 0, v2, vcc
	s_add_i32 s0, s1, s0
	s_mul_i32 s1, s8, 0x1500
	v_mov_b32_e32 v3, s0
	v_add_co_u32_e32 v2, vcc, s1, v0
	v_addc_co_u32_e32 v3, vcc, v1, v3, vcc
	v_add_co_u32_e32 v32, vcc, s6, v14
	s_mul_i32 s6, s9, 0xffffee80
	v_addc_co_u32_e32 v33, vcc, 0, v15, vcc
	s_add_i32 s6, s7, s6
	s_mul_i32 s7, s8, 0xffffee80
	v_mad_u64_u32 v[4:5], s[10:11], s8, v13, 0
	global_load_dwordx4 v[48:51], v[0:1], off
	global_load_dwordx4 v[52:55], v[2:3], off
	v_mov_b32_e32 v1, s6
	v_add_co_u32_e32 v0, vcc, s7, v2
	global_load_dwordx4 v[8:11], v[32:33], off offset:1280
	v_addc_co_u32_e32 v1, vcc, v3, v1, vcc
	global_load_dwordx4 v[44:47], v213, s[12:13]
	global_load_dwordx4 v[28:31], v213, s[12:13] offset:896
	v_mov_b32_e32 v3, s0
	v_add_co_u32_e32 v2, vcc, s1, v0
	v_addc_co_u32_e32 v3, vcc, v1, v3, vcc
	global_load_dwordx4 v[56:59], v[0:1], off
	global_load_dwordx4 v[60:63], v[2:3], off
	global_load_dwordx4 v[40:43], v[32:33], off offset:2176
	v_mov_b32_e32 v0, v5
	v_mad_u64_u32 v[0:1], s[10:11], s9, v13, v[0:1]
	v_mov_b32_e32 v12, s6
	v_add_co_u32_e32 v1, vcc, s7, v2
	v_mov_b32_e32 v5, v0
	v_addc_co_u32_e32 v2, vcc, v3, v12, vcc
	v_lshlrev_b64 v[3:4], 4, v[4:5]
	v_mov_b32_e32 v0, 0x380
	v_add_co_u32_e32 v3, vcc, v7, v3
	v_addc_co_u32_e32 v4, vcc, v6, v4, vcc
	global_load_dwordx4 v[64:67], v[1:2], off
	global_load_dwordx4 v[68:71], v[3:4], off
	v_mad_u64_u32 v[0:1], s[10:11], s8, v0, v[1:2]
	v_lshlrev_b32_e32 v2, 4, v13
	s_mul_i32 s8, s9, 0x380
	buffer_store_dword v13, off, s[28:31], 0 ; 4-byte Folded Spill
	buffer_store_dword v2, off, s[28:31], 0 offset:80 ; 4-byte Folded Spill
	v_add_u32_e32 v1, s8, v1
	global_load_dwordx4 v[24:27], v2, s[12:13]
	global_load_dwordx4 v[72:75], v[0:1], off
	global_load_dwordx4 v[36:39], v213, s[12:13] offset:1792
	global_load_dwordx4 v[20:23], v213, s[12:13] offset:2688
	v_mov_b32_e32 v2, s0
	v_add_co_u32_e32 v0, vcc, s1, v0
	v_addc_co_u32_e32 v1, vcc, v1, v2, vcc
	v_mov_b32_e32 v2, s6
	v_add_co_u32_e32 v4, vcc, s7, v0
	v_addc_co_u32_e32 v5, vcc, v1, v2, vcc
	global_load_dwordx4 v[76:79], v[0:1], off
	global_load_dwordx4 v[16:19], v[32:33], off offset:3968
	v_mov_b32_e32 v6, s0
	v_add_co_u32_e32 v12, vcc, s1, v4
	v_addc_co_u32_e32 v13, vcc, v5, v6, vcc
	s_movk_i32 s8, 0x2000
	v_add_co_u32_e32 v96, vcc, s8, v14
	v_addc_co_u32_e32 v97, vcc, 0, v15, vcc
	v_mov_b32_e32 v14, s6
	v_add_co_u32_e32 v34, vcc, s7, v12
	v_addc_co_u32_e32 v35, vcc, v13, v14, vcc
	global_load_dwordx4 v[80:83], v[4:5], off
	global_load_dwordx4 v[0:3], v213, s[12:13] offset:3584
	global_load_dwordx4 v[84:87], v[12:13], off
	v_add_co_u32_e32 v98, vcc, s1, v34
	global_load_dwordx4 v[4:7], v[96:97], off offset:768
	global_load_dwordx4 v[88:91], v[34:35], off
	global_load_dwordx4 v[12:15], v[32:33], off offset:384
	v_mov_b32_e32 v32, s0
	v_addc_co_u32_e32 v99, vcc, v35, v32, vcc
	global_load_dwordx4 v[92:95], v[98:99], off
	global_load_dwordx4 v[32:35], v[96:97], off offset:1664
	s_load_dwordx4 s[8:11], s[2:3], 0x0
	v_add_co_u32_e32 v181, vcc, 56, v214
	v_lshlrev_b32_e32 v245, 5, v181
	s_movk_i32 s0, 0x7c
	v_and_b32_e32 v124, 15, v181
	s_movk_i32 s6, 0x60
	v_and_b32_e32 v169, 31, v181
	s_mov_b32 s3, 0xbfebb67a
	s_waitcnt vmcnt(23)
	v_mul_f64 v[100:101], v[54:55], v[10:11]
	v_mul_f64 v[102:103], v[52:53], v[10:11]
	s_waitcnt vmcnt(22)
	v_mul_f64 v[96:97], v[50:51], v[46:47]
	v_mul_f64 v[98:99], v[48:49], v[46:47]
	v_cmp_gt_u16_e32 vcc, 40, v214
                                        ; implicit-def: $vgpr172_vgpr173
	v_fma_f64 v[52:53], v[52:53], v[8:9], v[100:101]
	v_fma_f64 v[54:55], v[54:55], v[8:9], -v[102:103]
	v_fma_f64 v[48:49], v[48:49], v[44:45], v[96:97]
	v_fma_f64 v[50:51], v[50:51], v[44:45], -v[98:99]
	s_waitcnt vmcnt(20)
	v_mul_f64 v[96:97], v[58:59], v[30:31]
	v_mul_f64 v[98:99], v[56:57], v[30:31]
	s_waitcnt vmcnt(18)
	v_mul_f64 v[100:101], v[62:63], v[42:43]
	ds_write_b128 v213, v[48:51]
	ds_write_b128 v213, v[52:55] offset:5376
	v_mul_f64 v[54:55], v[60:61], v[42:43]
	v_fma_f64 v[48:49], v[56:57], v[28:29], v[96:97]
	v_fma_f64 v[50:51], v[58:59], v[28:29], -v[98:99]
	v_fma_f64 v[52:53], v[60:61], v[40:41], v[100:101]
	v_fma_f64 v[54:55], v[62:63], v[40:41], -v[54:55]
	ds_write_b128 v213, v[48:51] offset:896
	v_add_u32_e32 v49, 0x70, v214
	v_add_u32_e32 v48, 0xa8, v214
	s_waitcnt vmcnt(11)
	v_mul_f64 v[56:57], v[66:67], v[38:39]
	v_mul_f64 v[58:59], v[64:65], v[38:39]
	;; [unrolled: 1-line block ×4, first 2 shown]
	s_waitcnt vmcnt(10)
	v_mul_f64 v[50:51], v[74:75], v[22:23]
	ds_write_b128 v213, v[52:55] offset:6272
	v_mul_f64 v[52:53], v[72:73], v[22:23]
	v_and_b32_e32 v125, 15, v48
	v_fma_f64 v[56:57], v[64:65], v[36:37], v[56:57]
	v_fma_f64 v[58:59], v[66:67], v[36:37], -v[58:59]
	v_fma_f64 v[60:61], v[68:69], v[24:25], v[60:61]
	v_fma_f64 v[62:63], v[70:71], v[24:25], -v[96:97]
	s_waitcnt vmcnt(8)
	v_mul_f64 v[64:65], v[76:77], v[18:19]
	ds_write_b128 v213, v[56:59] offset:1792
	ds_write_b128 v213, v[60:63] offset:7168
	v_mul_f64 v[54:55], v[78:79], v[18:19]
	v_fma_f64 v[50:51], v[72:73], v[20:21], v[50:51]
	v_fma_f64 v[56:57], v[78:79], v[16:17], -v[64:65]
	v_fma_f64 v[52:53], v[74:75], v[20:21], -v[52:53]
	v_and_b32_e32 v170, 31, v49
	v_and_b32_e32 v171, 31, v48
	v_fma_f64 v[54:55], v[76:77], v[16:17], v[54:55]
	s_waitcnt vmcnt(6)
	v_mul_f64 v[58:59], v[82:83], v[2:3]
	v_mul_f64 v[60:61], v[80:81], v[2:3]
	ds_write_b128 v213, v[50:53] offset:2688
	ds_write_b128 v213, v[54:57] offset:8064
	s_waitcnt vmcnt(2)
	v_mul_f64 v[66:67], v[90:91], v[14:15]
	v_mul_f64 v[68:69], v[88:89], v[14:15]
	;; [unrolled: 1-line block ×4, first 2 shown]
	s_waitcnt vmcnt(0)
	v_mul_f64 v[70:71], v[94:95], v[34:35]
	v_mul_f64 v[72:73], v[92:93], v[34:35]
	v_fma_f64 v[58:59], v[80:81], v[0:1], v[58:59]
	v_fma_f64 v[60:61], v[82:83], v[0:1], -v[60:61]
	v_fma_f64 v[66:67], v[88:89], v[12:13], v[66:67]
	v_fma_f64 v[68:69], v[90:91], v[12:13], -v[68:69]
	;; [unrolled: 2-line block ×4, first 2 shown]
	ds_write_b128 v213, v[58:61] offset:3584
	ds_write_b128 v213, v[62:65] offset:8960
	ds_write_b128 v213, v[66:69] offset:4480
	ds_write_b128 v213, v[70:73] offset:9856
	s_waitcnt lgkmcnt(0)
	; wave barrier
	s_waitcnt lgkmcnt(0)
	ds_read_b128 v[52:55], v213
	ds_read_b128 v[56:59], v213 offset:896
	ds_read_b128 v[60:63], v213 offset:5376
	;; [unrolled: 1-line block ×11, first 2 shown]
	s_waitcnt lgkmcnt(9)
	v_add_f64 v[60:61], v[52:53], -v[60:61]
	v_add_f64 v[62:63], v[54:55], -v[62:63]
	s_waitcnt lgkmcnt(8)
	v_add_f64 v[64:65], v[56:57], -v[64:65]
	v_add_f64 v[66:67], v[58:59], -v[66:67]
	;; [unrolled: 3-line block ×6, first 2 shown]
	v_fma_f64 v[52:53], v[52:53], 2.0, -v[60:61]
	v_fma_f64 v[54:55], v[54:55], 2.0, -v[62:63]
	;; [unrolled: 1-line block ×12, first 2 shown]
	s_waitcnt lgkmcnt(0)
	; wave barrier
	ds_write_b128 v244, v[52:55]
	ds_write_b128 v244, v[60:63] offset:16
	v_lshlrev_b32_e32 v52, 5, v49
	v_lshlrev_b32_e32 v50, 1, v214
	ds_write_b128 v245, v[56:59]
	ds_write_b128 v245, v[64:67] offset:16
	buffer_store_dword v52, off, s[28:31], 0 offset:64 ; 4-byte Folded Spill
	ds_write_b128 v52, v[76:79] offset:16
	v_lshlrev_b32_e32 v52, 5, v48
	v_add_u32_e32 v51, 0x118, v214
	ds_write_b128 v244, v[68:71] offset:3584
	buffer_store_dword v52, off, s[28:31], 0 offset:68 ; 4-byte Folded Spill
	ds_write_b128 v52, v[80:83] offset:16
	v_add_u32_e32 v52, 0x1c0, v50
	v_lshlrev_b32_e32 v53, 4, v50
	ds_write_b128 v244, v[72:75] offset:5376
	v_lshlrev_b32_e32 v54, 4, v52
	ds_write_b128 v53, v[84:87] offset:7168
	;; [unrolled: 2-line block ×3, first 2 shown]
	buffer_store_dword v53, off, s[28:31], 0 offset:76 ; 4-byte Folded Spill
	ds_write_b128 v53, v[96:99] offset:16
	v_lshlrev_b32_e32 v53, 4, v109
	buffer_store_dword v54, off, s[28:31], 0 offset:72 ; 4-byte Folded Spill
	ds_write_b128 v244, v[88:91] offset:8960
	s_waitcnt lgkmcnt(0)
	; wave barrier
	s_waitcnt lgkmcnt(0)
	global_load_dwordx4 v[148:151], v53, s[14:15]
	ds_read_b128 v[53:56], v213 offset:5376
	ds_read_b128 v[57:60], v213 offset:6272
	ds_read_b128 v[61:64], v213
	ds_read_b128 v[65:68], v213 offset:896
	ds_read_b128 v[69:72], v213 offset:7168
	ds_read_b128 v[73:76], v213 offset:8064
	ds_read_b128 v[77:80], v213 offset:8960
	ds_read_b128 v[81:84], v213 offset:9856
	s_waitcnt vmcnt(0) lgkmcnt(7)
	v_mul_f64 v[85:86], v[55:56], v[150:151]
	v_mul_f64 v[87:88], v[53:54], v[150:151]
	s_waitcnt lgkmcnt(6)
	v_mul_f64 v[89:90], v[59:60], v[150:151]
	s_waitcnt lgkmcnt(1)
	v_mul_f64 v[97:98], v[79:80], v[150:151]
	v_mul_f64 v[91:92], v[57:58], v[150:151]
	;; [unrolled: 1-line block ×4, first 2 shown]
	s_waitcnt lgkmcnt(0)
	v_mul_f64 v[103:104], v[81:82], v[150:151]
	v_fma_f64 v[85:86], v[53:54], v[148:149], -v[85:86]
	v_fma_f64 v[87:88], v[55:56], v[148:149], v[87:88]
	v_mul_f64 v[53:54], v[71:72], v[150:151]
	v_mul_f64 v[55:56], v[69:70], v[150:151]
	v_fma_f64 v[89:90], v[57:58], v[148:149], -v[89:90]
	v_mul_f64 v[57:58], v[77:78], v[150:151]
	v_fma_f64 v[97:98], v[77:78], v[148:149], -v[97:98]
	v_mul_f64 v[77:78], v[83:84], v[150:151]
	v_fma_f64 v[91:92], v[59:60], v[148:149], v[91:92]
	v_fma_f64 v[93:94], v[73:74], v[148:149], -v[93:94]
	v_fma_f64 v[99:100], v[69:70], v[148:149], -v[53:54]
	v_fma_f64 v[101:102], v[71:72], v[148:149], v[55:56]
	v_fma_f64 v[95:96], v[75:76], v[148:149], v[95:96]
	;; [unrolled: 1-line block ×3, first 2 shown]
	ds_read_b128 v[53:56], v213 offset:1792
	ds_read_b128 v[57:60], v213 offset:2688
	v_fma_f64 v[107:108], v[81:82], v[148:149], -v[77:78]
	v_fma_f64 v[103:104], v[83:84], v[148:149], v[103:104]
	v_add_f64 v[69:70], v[61:62], -v[85:86]
	v_add_f64 v[71:72], v[63:64], -v[87:88]
	;; [unrolled: 1-line block ×4, first 2 shown]
	ds_read_b128 v[85:88], v213 offset:3584
	ds_read_b128 v[89:92], v213 offset:4480
	s_waitcnt lgkmcnt(3)
	v_add_f64 v[77:78], v[53:54], -v[99:100]
	v_add_f64 v[79:80], v[55:56], -v[101:102]
	s_waitcnt lgkmcnt(2)
	v_add_f64 v[81:82], v[57:58], -v[93:94]
	v_add_f64 v[83:84], v[59:60], -v[95:96]
	;; [unrolled: 3-line block ×4, first 2 shown]
	v_fma_f64 v[61:62], v[61:62], 2.0, -v[69:70]
	v_fma_f64 v[63:64], v[63:64], 2.0, -v[71:72]
	;; [unrolled: 1-line block ×8, first 2 shown]
	v_and_or_b32 v53, v50, s0, v109
	v_fma_f64 v[85:86], v[85:86], 2.0, -v[93:94]
	v_fma_f64 v[87:88], v[87:88], 2.0, -v[95:96]
	;; [unrolled: 1-line block ×4, first 2 shown]
	v_lshlrev_b32_e32 v238, 4, v53
	v_lshlrev_b32_e32 v56, 1, v181
	s_movk_i32 s0, 0xfc
	s_waitcnt lgkmcnt(0)
	; wave barrier
	ds_write_b128 v238, v[61:64]
	v_lshlrev_b32_e32 v55, 1, v49
	v_and_or_b32 v61, v56, s0, v109
	s_movk_i32 s0, 0x1fc
	v_lshlrev_b32_e32 v54, 1, v48
	v_lshlrev_b32_e32 v239, 4, v61
	v_and_or_b32 v61, v55, s0, v109
	v_lshlrev_b32_e32 v240, 4, v61
	v_and_or_b32 v61, v54, s0, v109
	v_lshlrev_b32_e32 v241, 4, v61
	s_movk_i32 s0, 0x3fc
	ds_write_b128 v238, v[69:72] offset:32
	v_lshlrev_b32_e32 v53, 1, v51
	ds_write_b128 v239, v[65:68]
	ds_write_b128 v239, v[73:76] offset:32
	ds_write_b128 v240, v[101:104]
	ds_write_b128 v240, v[77:80] offset:32
	;; [unrolled: 2-line block ×3, first 2 shown]
	v_and_or_b32 v57, v52, s0, v109
	s_movk_i32 s0, 0x2fc
	v_lshlrev_b32_e32 v242, 4, v57
	v_and_or_b32 v57, v53, s0, v109
	v_and_b32_e32 v105, 3, v214
	v_lshlrev_b32_e32 v243, 4, v57
	v_lshlrev_b32_e32 v57, 4, v105
	ds_write_b128 v242, v[85:88]
	ds_write_b128 v242, v[93:96] offset:32
	ds_write_b128 v243, v[89:92]
	ds_write_b128 v243, v[97:100] offset:32
	s_waitcnt lgkmcnt(0)
	; wave barrier
	s_waitcnt lgkmcnt(0)
	global_load_dwordx4 v[108:111], v57, s[14:15] offset:32
	ds_read_b128 v[57:60], v213 offset:5376
	ds_read_b128 v[61:64], v213 offset:6272
	;; [unrolled: 1-line block ×4, first 2 shown]
	s_movk_i32 s0, 0x78
	v_and_or_b32 v106, v50, s0, v105
	v_lshlrev_b32_e32 v106, 4, v106
	s_movk_i32 s0, 0xf8
	v_and_b32_e32 v51, 15, v51
	v_lshrrev_b32_e32 v49, 5, v49
	v_lshrrev_b32_e32 v48, 5, v48
	v_mul_u32_u24_e32 v49, 0x60, v49
	v_mul_u32_u24_e32 v48, 0x60, v48
	v_or_b32_e32 v49, v49, v170
	v_or_b32_e32 v48, v48, v171
	v_lshlrev_b32_e32 v218, 4, v49
	v_lshlrev_b32_e32 v219, 4, v48
	s_waitcnt vmcnt(0) lgkmcnt(3)
	v_mul_f64 v[73:74], v[59:60], v[110:111]
	v_mul_f64 v[75:76], v[57:58], v[110:111]
	s_waitcnt lgkmcnt(2)
	v_mul_f64 v[77:78], v[63:64], v[110:111]
	v_mul_f64 v[79:80], v[61:62], v[110:111]
	s_waitcnt lgkmcnt(1)
	;; [unrolled: 3-line block ×3, first 2 shown]
	v_mul_f64 v[85:86], v[71:72], v[110:111]
	v_mul_f64 v[87:88], v[69:70], v[110:111]
	v_fma_f64 v[73:74], v[57:58], v[108:109], -v[73:74]
	v_fma_f64 v[75:76], v[59:60], v[108:109], v[75:76]
	v_fma_f64 v[77:78], v[61:62], v[108:109], -v[77:78]
	v_fma_f64 v[79:80], v[63:64], v[108:109], v[79:80]
	ds_read_b128 v[57:60], v213 offset:8960
	ds_read_b128 v[61:64], v213 offset:9856
	v_fma_f64 v[81:82], v[65:66], v[108:109], -v[81:82]
	v_fma_f64 v[83:84], v[67:68], v[108:109], v[83:84]
	v_fma_f64 v[93:94], v[69:70], v[108:109], -v[85:86]
	ds_read_b128 v[65:68], v213
	v_fma_f64 v[95:96], v[71:72], v[108:109], v[87:88]
	ds_read_b128 v[69:72], v213 offset:896
	s_waitcnt lgkmcnt(3)
	v_mul_f64 v[89:90], v[59:60], v[110:111]
	v_mul_f64 v[91:92], v[57:58], v[110:111]
	s_waitcnt lgkmcnt(2)
	v_mul_f64 v[85:86], v[63:64], v[110:111]
	v_mul_f64 v[87:88], v[61:62], v[110:111]
	s_waitcnt lgkmcnt(1)
	v_add_f64 v[73:74], v[65:66], -v[73:74]
	v_add_f64 v[75:76], v[67:68], -v[75:76]
	s_waitcnt lgkmcnt(0)
	v_add_f64 v[77:78], v[69:70], -v[77:78]
	v_add_f64 v[79:80], v[71:72], -v[79:80]
	v_fma_f64 v[97:98], v[57:58], v[108:109], -v[89:90]
	v_fma_f64 v[99:100], v[59:60], v[108:109], v[91:92]
	v_fma_f64 v[101:102], v[61:62], v[108:109], -v[85:86]
	v_fma_f64 v[103:104], v[63:64], v[108:109], v[87:88]
	v_fma_f64 v[57:58], v[65:66], 2.0, -v[73:74]
	ds_read_b128 v[61:64], v213 offset:1792
	v_fma_f64 v[59:60], v[67:68], 2.0, -v[75:76]
	v_fma_f64 v[65:66], v[69:70], 2.0, -v[77:78]
	;; [unrolled: 1-line block ×3, first 2 shown]
	ds_read_b128 v[69:72], v213 offset:2688
	ds_read_b128 v[85:88], v213 offset:3584
	ds_read_b128 v[89:92], v213 offset:4480
	s_waitcnt lgkmcnt(3)
	v_add_f64 v[81:82], v[61:62], -v[81:82]
	v_add_f64 v[83:84], v[63:64], -v[83:84]
	s_waitcnt lgkmcnt(2)
	v_add_f64 v[93:94], v[69:70], -v[93:94]
	v_add_f64 v[95:96], v[71:72], -v[95:96]
	;; [unrolled: 3-line block ×4, first 2 shown]
	v_fma_f64 v[61:62], v[61:62], 2.0, -v[81:82]
	v_fma_f64 v[63:64], v[63:64], 2.0, -v[83:84]
	;; [unrolled: 1-line block ×8, first 2 shown]
	s_waitcnt lgkmcnt(0)
	; wave barrier
	ds_write_b128 v106, v[57:60]
	v_and_or_b32 v57, v56, s0, v105
	v_lshlrev_b32_e32 v57, 4, v57
	s_movk_i32 s0, 0x1f8
	ds_write_b128 v106, v[73:76] offset:64
	ds_write_b128 v57, v[65:68]
	buffer_store_dword v57, off, s[28:31], 0 offset:56 ; 4-byte Folded Spill
	ds_write_b128 v57, v[77:80] offset:64
	v_and_or_b32 v57, v55, s0, v105
	v_lshlrev_b32_e32 v215, 4, v57
	v_and_or_b32 v57, v54, s0, v105
	v_lshlrev_b32_e32 v57, 4, v57
	s_movk_i32 s0, 0x3f8
	buffer_store_dword v106, off, s[28:31], 0 offset:48 ; 4-byte Folded Spill
	ds_write_b128 v215, v[61:64]
	ds_write_b128 v215, v[81:84] offset:64
	ds_write_b128 v57, v[69:72]
	buffer_store_dword v57, off, s[28:31], 0 offset:60 ; 4-byte Folded Spill
	ds_write_b128 v57, v[93:96] offset:64
	v_and_or_b32 v57, v52, s0, v105
	s_movk_i32 s0, 0x2f8
	v_lshlrev_b32_e32 v255, 4, v57
	v_and_or_b32 v57, v53, s0, v105
	v_lshlrev_b32_e32 v250, 4, v57
	ds_write_b128 v255, v[85:88]
	ds_write_b128 v255, v[97:100] offset:64
	ds_write_b128 v250, v[89:92]
	ds_write_b128 v250, v[101:104] offset:64
	v_and_b32_e32 v103, 7, v214
	v_lshlrev_b32_e32 v57, 4, v103
	s_waitcnt lgkmcnt(0)
	; wave barrier
	s_waitcnt lgkmcnt(0)
	global_load_dwordx4 v[104:107], v57, s[14:15] offset:96
	ds_read_b128 v[57:60], v213 offset:5376
	ds_read_b128 v[61:64], v213 offset:6272
	;; [unrolled: 1-line block ×4, first 2 shown]
	s_movk_i32 s0, 0x70
	s_waitcnt vmcnt(0) lgkmcnt(3)
	v_mul_f64 v[73:74], v[59:60], v[106:107]
	v_mul_f64 v[75:76], v[57:58], v[106:107]
	s_waitcnt lgkmcnt(2)
	v_mul_f64 v[77:78], v[63:64], v[106:107]
	v_mul_f64 v[79:80], v[61:62], v[106:107]
	s_waitcnt lgkmcnt(1)
	;; [unrolled: 3-line block ×3, first 2 shown]
	v_mul_f64 v[85:86], v[71:72], v[106:107]
	v_mul_f64 v[87:88], v[69:70], v[106:107]
	v_fma_f64 v[73:74], v[57:58], v[104:105], -v[73:74]
	v_fma_f64 v[75:76], v[59:60], v[104:105], v[75:76]
	v_fma_f64 v[77:78], v[61:62], v[104:105], -v[77:78]
	v_fma_f64 v[79:80], v[63:64], v[104:105], v[79:80]
	ds_read_b128 v[57:60], v213 offset:8960
	ds_read_b128 v[61:64], v213 offset:9856
	v_fma_f64 v[81:82], v[65:66], v[104:105], -v[81:82]
	v_fma_f64 v[83:84], v[67:68], v[104:105], v[83:84]
	v_fma_f64 v[93:94], v[69:70], v[104:105], -v[85:86]
	v_fma_f64 v[95:96], v[71:72], v[104:105], v[87:88]
	ds_read_b128 v[65:68], v213
	ds_read_b128 v[69:72], v213 offset:896
	s_waitcnt lgkmcnt(2)
	v_mul_f64 v[89:90], v[63:64], v[106:107]
	v_mul_f64 v[91:92], v[61:62], v[106:107]
	;; [unrolled: 1-line block ×4, first 2 shown]
	s_waitcnt lgkmcnt(1)
	v_add_f64 v[73:74], v[65:66], -v[73:74]
	v_add_f64 v[75:76], v[67:68], -v[75:76]
	s_waitcnt lgkmcnt(0)
	v_add_f64 v[77:78], v[69:70], -v[77:78]
	v_add_f64 v[79:80], v[71:72], -v[79:80]
	v_fma_f64 v[101:102], v[61:62], v[104:105], -v[89:90]
	v_fma_f64 v[114:115], v[63:64], v[104:105], v[91:92]
	ds_read_b128 v[61:64], v213 offset:1792
	v_fma_f64 v[97:98], v[57:58], v[104:105], -v[85:86]
	v_fma_f64 v[99:100], v[59:60], v[104:105], v[87:88]
	v_fma_f64 v[57:58], v[65:66], 2.0, -v[73:74]
	v_fma_f64 v[59:60], v[67:68], 2.0, -v[75:76]
	;; [unrolled: 1-line block ×4, first 2 shown]
	ds_read_b128 v[69:72], v213 offset:2688
	ds_read_b128 v[85:88], v213 offset:3584
	ds_read_b128 v[89:92], v213 offset:4480
	s_waitcnt lgkmcnt(3)
	v_add_f64 v[81:82], v[61:62], -v[81:82]
	v_add_f64 v[83:84], v[63:64], -v[83:84]
	s_waitcnt lgkmcnt(2)
	v_add_f64 v[93:94], v[69:70], -v[93:94]
	v_add_f64 v[95:96], v[71:72], -v[95:96]
	;; [unrolled: 3-line block ×4, first 2 shown]
	v_fma_f64 v[61:62], v[61:62], 2.0, -v[81:82]
	v_fma_f64 v[63:64], v[63:64], 2.0, -v[83:84]
	;; [unrolled: 1-line block ×4, first 2 shown]
	v_and_or_b32 v101, v50, s0, v103
	v_lshlrev_b32_e32 v101, 4, v101
	s_movk_i32 s0, 0xf0
	v_fma_f64 v[85:86], v[85:86], 2.0, -v[97:98]
	v_fma_f64 v[87:88], v[87:88], 2.0, -v[99:100]
	s_waitcnt lgkmcnt(0)
	; wave barrier
	ds_write_b128 v101, v[57:60]
	v_and_or_b32 v57, v56, s0, v103
	v_lshlrev_b32_e32 v57, 4, v57
	s_movk_i32 s0, 0x1f0
	v_fma_f64 v[89:90], v[89:90], 2.0, -v[112:113]
	v_fma_f64 v[91:92], v[91:92], 2.0, -v[114:115]
	ds_write_b128 v101, v[73:76] offset:128
	ds_write_b128 v57, v[65:68]
	buffer_store_dword v57, off, s[28:31], 0 offset:8 ; 4-byte Folded Spill
	ds_write_b128 v57, v[77:80] offset:128
	v_and_or_b32 v57, v55, s0, v103
	v_lshlrev_b32_e32 v57, 4, v57
	ds_write_b128 v57, v[61:64]
	buffer_store_dword v57, off, s[28:31], 0 offset:12 ; 4-byte Folded Spill
	ds_write_b128 v57, v[81:84] offset:128
	v_and_or_b32 v57, v54, s0, v103
	v_lshlrev_b32_e32 v57, 4, v57
	s_movk_i32 s0, 0x3f0
	ds_write_b128 v57, v[69:72]
	buffer_store_dword v57, off, s[28:31], 0 offset:16 ; 4-byte Folded Spill
	ds_write_b128 v57, v[93:96] offset:128
	v_and_or_b32 v57, v52, s0, v103
	v_lshlrev_b32_e32 v57, 4, v57
	s_movk_i32 s0, 0x2f0
	ds_write_b128 v57, v[85:88]
	buffer_store_dword v57, off, s[28:31], 0 offset:20 ; 4-byte Folded Spill
	ds_write_b128 v57, v[97:100] offset:128
	v_and_or_b32 v57, v53, s0, v103
	v_lshlrev_b32_e32 v57, 4, v57
	v_and_b32_e32 v95, 15, v214
	ds_write_b128 v57, v[89:92]
	buffer_store_dword v57, off, s[28:31], 0 offset:24 ; 4-byte Folded Spill
	ds_write_b128 v57, v[112:115] offset:128
	v_lshlrev_b32_e32 v57, 4, v95
	v_lshlrev_b32_e32 v58, 4, v125
	buffer_store_dword v101, off, s[28:31], 0 offset:4 ; 4-byte Folded Spill
	s_waitcnt lgkmcnt(0)
	; wave barrier
	s_waitcnt lgkmcnt(0)
	global_load_dwordx4 v[96:99], v57, s[14:15] offset:224
	global_load_dwordx4 v[144:147], v58, s[14:15] offset:224
	v_lshlrev_b32_e32 v57, 4, v51
	global_load_dwordx4 v[100:103], v57, s[14:15] offset:224
	v_lshlrev_b32_e32 v58, 4, v124
	global_load_dwordx2 v[179:180], v58, s[14:15] offset:224
	global_load_dwordx2 v[177:178], v57, s[14:15] offset:232
	ds_read_b128 v[57:60], v213 offset:5376
	ds_read_b128 v[61:64], v213 offset:6272
	;; [unrolled: 1-line block ×4, first 2 shown]
	v_and_or_b32 v50, v50, s6, v95
	v_lshlrev_b32_e32 v50, 4, v50
	s_movk_i32 s0, 0xe0
	s_waitcnt vmcnt(4) lgkmcnt(3)
	v_mul_f64 v[73:74], v[59:60], v[98:99]
	v_mul_f64 v[75:76], v[57:58], v[98:99]
	s_waitcnt lgkmcnt(1)
	v_mul_f64 v[81:82], v[67:68], v[98:99]
	s_waitcnt vmcnt(2)
	v_mul_f64 v[77:78], v[63:64], v[102:103]
	v_mul_f64 v[79:80], v[61:62], v[102:103]
	;; [unrolled: 1-line block ×3, first 2 shown]
	s_waitcnt lgkmcnt(0)
	v_mul_f64 v[85:86], v[71:72], v[146:147]
	v_mul_f64 v[87:88], v[69:70], v[146:147]
	v_fma_f64 v[73:74], v[57:58], v[96:97], -v[73:74]
	v_fma_f64 v[75:76], v[59:60], v[96:97], v[75:76]
	ds_read_b128 v[57:60], v213 offset:8960
	s_waitcnt vmcnt(1)
	v_fma_f64 v[77:78], v[61:62], v[179:180], -v[77:78]
	v_fma_f64 v[79:80], v[63:64], v[179:180], v[79:80]
	ds_read_b128 v[61:64], v213 offset:9856
	v_fma_f64 v[81:82], v[65:66], v[96:97], -v[81:82]
	v_fma_f64 v[83:84], v[67:68], v[96:97], v[83:84]
	v_fma_f64 v[93:94], v[69:70], v[144:145], -v[85:86]
	v_fma_f64 v[114:115], v[71:72], v[144:145], v[87:88]
	ds_read_b128 v[65:68], v213
	ds_read_b128 v[69:72], v213 offset:896
	s_waitcnt vmcnt(0) lgkmcnt(2)
	v_mul_f64 v[89:90], v[63:64], v[177:178]
	v_mul_f64 v[91:92], v[61:62], v[177:178]
	;; [unrolled: 1-line block ×4, first 2 shown]
	s_waitcnt lgkmcnt(1)
	v_add_f64 v[73:74], v[65:66], -v[73:74]
	v_add_f64 v[75:76], v[67:68], -v[75:76]
	s_waitcnt lgkmcnt(0)
	v_add_f64 v[77:78], v[69:70], -v[77:78]
	v_add_f64 v[79:80], v[71:72], -v[79:80]
	v_fma_f64 v[120:121], v[61:62], v[100:101], -v[89:90]
	v_fma_f64 v[122:123], v[63:64], v[100:101], v[91:92]
	ds_read_b128 v[61:64], v213 offset:1792
	v_fma_f64 v[116:117], v[57:58], v[96:97], -v[85:86]
	v_fma_f64 v[118:119], v[59:60], v[96:97], v[87:88]
	v_fma_f64 v[57:58], v[65:66], 2.0, -v[73:74]
	v_fma_f64 v[59:60], v[67:68], 2.0, -v[75:76]
	;; [unrolled: 1-line block ×4, first 2 shown]
	ds_read_b128 v[69:72], v213 offset:2688
	ds_read_b128 v[85:88], v213 offset:3584
	;; [unrolled: 1-line block ×3, first 2 shown]
	s_waitcnt lgkmcnt(3)
	v_add_f64 v[81:82], v[61:62], -v[81:82]
	v_add_f64 v[83:84], v[63:64], -v[83:84]
	s_waitcnt lgkmcnt(2)
	v_add_f64 v[112:113], v[69:70], -v[93:94]
	v_add_f64 v[114:115], v[71:72], -v[114:115]
	;; [unrolled: 3-line block ×4, first 2 shown]
	v_fma_f64 v[61:62], v[61:62], 2.0, -v[81:82]
	v_fma_f64 v[63:64], v[63:64], 2.0, -v[83:84]
	;; [unrolled: 1-line block ×6, first 2 shown]
	s_waitcnt lgkmcnt(0)
	; wave barrier
	ds_write_b128 v50, v[57:60]
	buffer_store_dword v50, off, s[28:31], 0 offset:28 ; 4-byte Folded Spill
	ds_write_b128 v50, v[73:76] offset:256
	v_and_or_b32 v50, v56, s0, v124
	v_lshlrev_b32_e32 v50, 4, v50
	s_movk_i32 s0, 0x1e0
	v_fma_f64 v[89:90], v[89:90], 2.0, -v[120:121]
	v_fma_f64 v[91:92], v[91:92], 2.0, -v[122:123]
	ds_write_b128 v50, v[65:68]
	buffer_store_dword v50, off, s[28:31], 0 offset:32 ; 4-byte Folded Spill
	ds_write_b128 v50, v[77:80] offset:256
	v_and_or_b32 v50, v55, s0, v95
	v_lshlrev_b32_e32 v50, 4, v50
	ds_write_b128 v50, v[61:64]
	buffer_store_dword v50, off, s[28:31], 0 offset:36 ; 4-byte Folded Spill
	ds_write_b128 v50, v[81:84] offset:256
	v_and_or_b32 v50, v54, s0, v125
	v_lshlrev_b32_e32 v50, 4, v50
	s_movk_i32 s0, 0x3e0
	ds_write_b128 v50, v[69:72]
	buffer_store_dword v50, off, s[28:31], 0 offset:40 ; 4-byte Folded Spill
	ds_write_b128 v50, v[112:115] offset:256
	v_and_or_b32 v50, v52, s0, v95
	v_lshlrev_b32_e32 v50, 4, v50
	s_movk_i32 s0, 0x2e0
	ds_write_b128 v50, v[85:88]
	buffer_store_dword v50, off, s[28:31], 0 offset:44 ; 4-byte Folded Spill
	ds_write_b128 v50, v[116:119] offset:256
	v_and_or_b32 v50, v53, s0, v51
	v_lshlrev_b32_e32 v50, 4, v50
	ds_write_b128 v50, v[89:92]
	buffer_store_dword v50, off, s[28:31], 0 offset:52 ; 4-byte Folded Spill
	ds_write_b128 v50, v[120:123] offset:256
	v_lshlrev_b32_e32 v50, 5, v168
	s_waitcnt lgkmcnt(0)
	; wave barrier
	s_waitcnt lgkmcnt(0)
	global_load_dwordx4 v[128:131], v50, s[14:15] offset:480
	global_load_dwordx4 v[112:115], v50, s[14:15] offset:496
	v_lshlrev_b32_e32 v50, 5, v169
	global_load_dwordx4 v[120:123], v50, s[14:15] offset:480
	global_load_dwordx4 v[132:135], v50, s[14:15] offset:496
	v_lshlrev_b32_e32 v50, 5, v170
	;; [unrolled: 3-line block ×3, first 2 shown]
	global_load_dwordx4 v[124:127], v50, s[14:15] offset:480
	global_load_dwordx4 v[140:143], v50, s[14:15] offset:496
	ds_read_b128 v[50:53], v213 offset:3584
	ds_read_b128 v[54:57], v213 offset:7168
	;; [unrolled: 1-line block ×4, first 2 shown]
	s_mov_b32 s0, 0xe8584caa
	s_mov_b32 s1, 0x3febb67a
	;; [unrolled: 1-line block ×3, first 2 shown]
	s_waitcnt vmcnt(7) lgkmcnt(3)
	v_mul_f64 v[66:67], v[52:53], v[130:131]
	v_mul_f64 v[68:69], v[50:51], v[130:131]
	s_waitcnt vmcnt(6) lgkmcnt(2)
	v_mul_f64 v[70:71], v[56:57], v[114:115]
	v_mul_f64 v[72:73], v[54:55], v[114:115]
	s_waitcnt vmcnt(5) lgkmcnt(1)
	v_mul_f64 v[74:75], v[60:61], v[122:123]
	v_fma_f64 v[76:77], v[50:51], v[128:129], -v[66:67]
	v_fma_f64 v[78:79], v[52:53], v[128:129], v[68:69]
	ds_read_b128 v[50:53], v213 offset:5376
	v_fma_f64 v[80:81], v[54:55], v[112:113], -v[70:71]
	v_fma_f64 v[82:83], v[56:57], v[112:113], v[72:73]
	ds_read_b128 v[54:57], v213 offset:8960
	ds_read_b128 v[66:69], v213 offset:6272
	v_fma_f64 v[74:75], v[58:59], v[120:121], -v[74:75]
	v_mul_f64 v[58:59], v[58:59], v[122:123]
	s_waitcnt vmcnt(4) lgkmcnt(3)
	v_mul_f64 v[84:85], v[64:65], v[134:135]
	v_mul_f64 v[86:87], v[62:63], v[134:135]
	s_waitcnt vmcnt(1) lgkmcnt(0)
	v_mul_f64 v[152:153], v[68:69], v[126:127]
	v_mul_f64 v[88:89], v[52:53], v[138:139]
	;; [unrolled: 1-line block ×3, first 2 shown]
	ds_read_b128 v[70:73], v213 offset:9856
	v_mul_f64 v[92:93], v[56:57], v[118:119]
	v_mul_f64 v[94:95], v[54:55], v[118:119]
	v_fma_f64 v[154:155], v[60:61], v[120:121], v[58:59]
	v_fma_f64 v[84:85], v[62:63], v[132:133], -v[84:85]
	v_mul_f64 v[58:59], v[66:67], v[126:127]
	v_fma_f64 v[86:87], v[64:65], v[132:133], v[86:87]
	v_fma_f64 v[156:157], v[66:67], v[124:125], -v[152:153]
	s_waitcnt vmcnt(0) lgkmcnt(0)
	v_mul_f64 v[60:61], v[72:73], v[142:143]
	v_mul_f64 v[62:63], v[70:71], v[142:143]
	v_add_f64 v[64:65], v[76:77], v[80:81]
	v_add_f64 v[66:67], v[78:79], v[82:83]
	v_fma_f64 v[88:89], v[50:51], v[136:137], -v[88:89]
	v_fma_f64 v[90:91], v[52:53], v[136:137], v[90:91]
	ds_read_b128 v[50:53], v213
	v_fma_f64 v[92:93], v[54:55], v[116:117], -v[92:93]
	v_fma_f64 v[94:95], v[56:57], v[116:117], v[94:95]
	ds_read_b128 v[54:57], v213 offset:896
	v_fma_f64 v[160:161], v[68:69], v[124:125], v[58:59]
	s_waitcnt lgkmcnt(1)
	v_add_f64 v[158:159], v[50:51], v[76:77]
	v_add_f64 v[68:69], v[74:75], v[84:85]
	;; [unrolled: 1-line block ×3, first 2 shown]
	v_fma_f64 v[162:163], v[70:71], v[140:141], -v[60:61]
	v_fma_f64 v[164:165], v[72:73], v[140:141], v[62:63]
	v_fma_f64 v[60:61], v[64:65], -0.5, v[50:51]
	v_fma_f64 v[64:65], v[66:67], -0.5, v[52:53]
	v_add_f64 v[66:67], v[76:77], -v[80:81]
	v_add_f64 v[70:71], v[154:155], v[86:87]
	s_waitcnt lgkmcnt(0)
	v_add_f64 v[72:73], v[56:57], v[154:155]
	v_add_f64 v[76:77], v[54:55], v[74:75]
	v_add_f64 v[62:63], v[78:79], -v[82:83]
	v_add_f64 v[50:51], v[158:159], v[80:81]
	v_fma_f64 v[78:79], v[68:69], -0.5, v[54:55]
	v_add_f64 v[80:81], v[154:155], -v[86:87]
	v_add_f64 v[52:53], v[152:153], v[82:83]
	v_fma_f64 v[82:83], v[70:71], -0.5, v[56:57]
	v_add_f64 v[56:57], v[72:73], v[86:87]
	v_add_f64 v[54:55], v[76:77], v[84:85]
	v_add_f64 v[76:77], v[74:75], -v[84:85]
	v_add_f64 v[86:87], v[90:91], v[94:95]
	v_fma_f64 v[58:59], v[62:63], s[0:1], v[60:61]
	v_fma_f64 v[62:63], v[62:63], s[2:3], v[60:61]
	;; [unrolled: 1-line block ×4, first 2 shown]
	ds_read_b128 v[66:69], v213 offset:1792
	v_add_f64 v[84:85], v[88:89], v[92:93]
	v_fma_f64 v[70:71], v[80:81], s[0:1], v[78:79]
	v_fma_f64 v[74:75], v[80:81], s[2:3], v[78:79]
	ds_read_b128 v[78:81], v213 offset:2688
	s_waitcnt lgkmcnt(1)
	v_add_f64 v[152:153], v[68:69], v[90:91]
	v_add_f64 v[154:155], v[66:67], v[88:89]
	v_add_f64 v[158:159], v[156:157], v[162:163]
	v_fma_f64 v[72:73], v[76:77], s[2:3], v[82:83]
	v_fma_f64 v[76:77], v[76:77], s[0:1], v[82:83]
	v_fma_f64 v[82:83], v[86:87], -0.5, v[68:69]
	v_add_f64 v[86:87], v[160:161], v[164:165]
	v_fma_f64 v[84:85], v[84:85], -0.5, v[66:67]
	v_add_f64 v[90:91], v[90:91], -v[94:95]
	v_add_f64 v[68:69], v[152:153], v[94:95]
	v_add_f64 v[66:67], v[154:155], v[92:93]
	v_add_f64 v[92:93], v[88:89], -v[92:93]
	s_waitcnt lgkmcnt(0)
	v_fma_f64 v[158:159], v[158:159], -0.5, v[78:79]
	v_add_f64 v[94:95], v[80:81], v[160:161]
	v_add_f64 v[78:79], v[78:79], v[156:157]
	v_add_f64 v[166:167], v[160:161], -v[164:165]
	v_fma_f64 v[80:81], v[86:87], -0.5, v[80:81]
	v_add_f64 v[86:87], v[156:157], -v[162:163]
	v_fma_f64 v[152:153], v[90:91], s[0:1], v[84:85]
	v_fma_f64 v[88:89], v[90:91], s[2:3], v[84:85]
	;; [unrolled: 1-line block ×4, first 2 shown]
	v_add_f64 v[94:95], v[94:95], v[164:165]
	v_add_f64 v[92:93], v[78:79], v[162:163]
	v_lshrrev_b32_e32 v78, 5, v214
	v_fma_f64 v[160:161], v[166:167], s[0:1], v[158:159]
	v_fma_f64 v[162:163], v[86:87], s[2:3], v[80:81]
	v_mul_u32_u24_e32 v78, 0x60, v78
	v_fma_f64 v[164:165], v[166:167], s[2:3], v[158:159]
	v_fma_f64 v[166:167], v[86:87], s[0:1], v[80:81]
	v_or_b32_e32 v78, v78, v168
	v_lshlrev_b32_e32 v216, 4, v78
	s_waitcnt lgkmcnt(0)
	; wave barrier
	ds_write_b128 v216, v[50:53]
	ds_write_b128 v216, v[58:61] offset:512
	ds_write_b128 v216, v[62:65] offset:1024
	v_lshrrev_b32_e32 v50, 5, v181
	v_mul_u32_u24_e32 v50, 0x60, v50
	v_or_b32_e32 v50, v50, v169
	v_lshlrev_b32_e32 v217, 4, v50
	ds_write_b128 v217, v[54:57]
	ds_write_b128 v217, v[70:73] offset:512
	ds_write_b128 v217, v[74:77] offset:1024
	ds_write_b128 v218, v[66:69]
	ds_write_b128 v218, v[152:155] offset:512
	ds_write_b128 v218, v[88:91] offset:1024
	;; [unrolled: 3-line block ×3, first 2 shown]
	s_waitcnt lgkmcnt(0)
	; wave barrier
	s_waitcnt lgkmcnt(0)
	ds_read_b128 v[156:159], v213
	ds_read_b128 v[84:87], v213 offset:1536
	ds_read_b128 v[80:83], v213 offset:3072
	;; [unrolled: 1-line block ×6, first 2 shown]
	s_load_dwordx2 s[2:3], s[4:5], 0x38
                                        ; implicit-def: $vgpr168_vgpr169
	s_and_saveexec_b64 s[0:1], vcc
	s_cbranch_execz .LBB0_3
; %bb.2:
	ds_read_b128 v[152:155], v213 offset:896
	ds_read_b128 v[88:91], v213 offset:2432
	;; [unrolled: 1-line block ×7, first 2 shown]
.LBB0_3:
	s_or_b64 exec, exec, s[0:1]
	v_mov_b32_e32 v61, s15
	v_mov_b32_e32 v60, s14
	v_mad_u64_u32 v[182:183], s[0:1], v214, s6, v[60:61]
	s_mov_b32 s6, 0x37e14327
	s_mov_b32 s16, 0x429ad128
	global_load_dwordx4 v[60:63], v[182:183], off offset:1552
	global_load_dwordx4 v[64:67], v[182:183], off offset:1536
	;; [unrolled: 1-line block ×4, first 2 shown]
	s_mov_b32 s7, 0x3fe948f6
	s_mov_b32 s17, 0x3febfeb5
	;; [unrolled: 1-line block ×14, first 2 shown]
	s_waitcnt vmcnt(0) lgkmcnt(0)
	v_mul_f64 v[184:185], v[86:87], v[74:75]
	v_fma_f64 v[195:196], v[84:85], v[72:73], -v[184:185]
	v_mul_f64 v[84:85], v[84:85], v[74:75]
	v_fma_f64 v[197:198], v[86:87], v[72:73], v[84:85]
	v_mul_f64 v[84:85], v[82:83], v[70:71]
	v_fma_f64 v[199:200], v[80:81], v[68:69], -v[84:85]
	v_mul_f64 v[80:81], v[80:81], v[70:71]
	v_fma_f64 v[201:202], v[82:83], v[68:69], v[80:81]
	v_mul_f64 v[80:81], v[78:79], v[66:67]
	v_fma_f64 v[203:204], v[76:77], v[64:65], -v[80:81]
	global_load_dwordx4 v[84:87], v[182:183], off offset:1584
	global_load_dwordx4 v[80:83], v[182:183], off offset:1568
	v_mul_f64 v[76:77], v[76:77], v[66:67]
	v_fma_f64 v[205:206], v[78:79], v[64:65], v[76:77]
	v_mul_f64 v[76:77], v[58:59], v[62:63]
	v_fma_f64 v[207:208], v[56:57], v[60:61], -v[76:77]
	v_mul_f64 v[56:57], v[56:57], v[62:63]
	v_fma_f64 v[209:210], v[58:59], v[60:61], v[56:57]
	s_waitcnt vmcnt(0)
	v_mul_f64 v[56:57], v[54:55], v[82:83]
	v_fma_f64 v[211:212], v[52:53], v[80:81], -v[56:57]
	v_mul_f64 v[52:53], v[52:53], v[82:83]
	v_fma_f64 v[220:221], v[54:55], v[80:81], v[52:53]
	v_mul_f64 v[52:53], v[50:51], v[86:87]
	v_fma_f64 v[222:223], v[48:49], v[84:85], -v[52:53]
	v_mul_f64 v[48:49], v[48:49], v[86:87]
	v_fma_f64 v[224:225], v[50:51], v[84:85], v[48:49]
	v_subrev_u32_e32 v48, 40, v214
	v_cndmask_b32_e32 v48, v48, v181, vcc
	v_mul_hi_i32_i24_e32 v49, 0x60, v48
	v_mul_i32_i24_e32 v48, 0x60, v48
	v_add_co_u32_e64 v226, s[0:1], s14, v48
	v_mov_b32_e32 v48, s15
	v_addc_co_u32_e64 v227, s[0:1], v48, v49, s[0:1]
	global_load_dwordx4 v[48:51], v[226:227], off offset:1552
	global_load_dwordx4 v[52:55], v[226:227], off offset:1536
	;; [unrolled: 1-line block ×4, first 2 shown]
	s_mov_b32 s0, 0x36b3c0b5
	s_mov_b32 s14, 0xe976ee23
	;; [unrolled: 1-line block ×4, first 2 shown]
	s_waitcnt vmcnt(0)
	v_mul_f64 v[181:182], v[90:91], v[78:79]
	v_fma_f64 v[181:182], v[88:89], v[76:77], -v[181:182]
	v_mul_f64 v[88:89], v[88:89], v[78:79]
	v_fma_f64 v[187:188], v[90:91], v[76:77], v[88:89]
	v_mul_f64 v[88:89], v[94:95], v[58:59]
	v_fma_f64 v[183:184], v[92:93], v[56:57], -v[88:89]
	v_mul_f64 v[88:89], v[92:93], v[58:59]
	v_fma_f64 v[189:190], v[94:95], v[56:57], v[88:89]
	;; [unrolled: 4-line block ×3, first 2 shown]
	v_mul_f64 v[88:89], v[166:167], v[50:51]
	v_add_f64 v[162:163], v[197:198], v[224:225]
	v_fma_f64 v[193:194], v[164:165], v[48:49], -v[88:89]
	v_mul_f64 v[88:89], v[164:165], v[50:51]
	v_fma_f64 v[164:165], v[166:167], v[48:49], v[88:89]
	global_load_dwordx4 v[88:91], v[226:227], off offset:1584
	global_load_dwordx4 v[92:95], v[226:227], off offset:1568
	v_add_f64 v[226:227], v[205:206], v[209:210]
	v_add_f64 v[232:233], v[162:163], -v[226:227]
	s_waitcnt vmcnt(0)
	v_mul_f64 v[160:161], v[170:171], v[94:95]
	v_fma_f64 v[166:167], v[168:169], v[92:93], -v[160:161]
	v_mul_f64 v[160:161], v[168:169], v[94:95]
	v_fma_f64 v[168:169], v[170:171], v[92:93], v[160:161]
	v_mul_f64 v[160:161], v[174:175], v[90:91]
	v_fma_f64 v[170:171], v[172:173], v[88:89], -v[160:161]
	v_mul_f64 v[160:161], v[172:173], v[90:91]
	v_fma_f64 v[172:173], v[174:175], v[88:89], v[160:161]
	v_add_f64 v[160:161], v[195:196], v[222:223]
	v_add_f64 v[174:175], v[195:196], -v[222:223]
	v_add_f64 v[222:223], v[197:198], -v[224:225]
	v_add_f64 v[195:196], v[199:200], v[211:212]
	v_add_f64 v[197:198], v[201:202], v[220:221]
	v_add_f64 v[211:212], v[199:200], -v[211:212]
	v_add_f64 v[220:221], v[201:202], -v[220:221]
	v_add_f64 v[224:225], v[203:204], v[207:208]
	v_add_f64 v[199:200], v[207:208], -v[203:204]
	v_add_f64 v[201:202], v[209:210], -v[205:206]
	v_add_f64 v[209:210], v[195:196], v[160:161]
	v_add_f64 v[228:229], v[197:198], v[162:163]
	v_add_f64 v[205:206], v[195:196], -v[160:161]
	v_add_f64 v[207:208], v[197:198], -v[162:163]
	;; [unrolled: 1-line block ×5, first 2 shown]
	v_add_f64 v[160:161], v[199:200], v[211:212]
	v_add_f64 v[162:163], v[201:202], v[220:221]
	v_add_f64 v[248:249], v[199:200], -v[211:212]
	v_add_f64 v[251:252], v[201:202], -v[220:221]
	;; [unrolled: 1-line block ×6, first 2 shown]
	v_add_f64 v[209:210], v[224:225], v[209:210]
	v_add_f64 v[211:212], v[226:227], v[228:229]
	;; [unrolled: 1-line block ×4, first 2 shown]
	v_mul_f64 v[220:221], v[234:235], s[0:1]
	v_mul_f64 v[222:223], v[246:247], s[0:1]
	;; [unrolled: 1-line block ×4, first 2 shown]
	v_add_f64 v[160:161], v[156:157], v[209:210]
	v_add_f64 v[162:163], v[158:159], v[211:212]
	v_mul_f64 v[156:157], v[230:231], s[6:7]
	v_mul_f64 v[158:159], v[232:233], s[6:7]
	;; [unrolled: 1-line block ×4, first 2 shown]
	v_fma_f64 v[220:221], v[205:206], s[4:5], -v[220:221]
	v_fma_f64 v[222:223], v[207:208], s[4:5], -v[222:223]
	v_fma_f64 v[209:210], v[209:210], s[18:19], v[160:161]
	v_fma_f64 v[211:212], v[211:212], s[18:19], v[162:163]
	;; [unrolled: 1-line block ×4, first 2 shown]
	v_fma_f64 v[156:157], v[205:206], s[20:21], -v[156:157]
	v_fma_f64 v[158:159], v[207:208], s[20:21], -v[158:159]
	v_fma_f64 v[205:206], v[197:198], s[26:27], v[224:225]
	v_fma_f64 v[207:208], v[199:200], s[26:27], v[226:227]
	v_fma_f64 v[201:202], v[201:202], s[16:17], -v[224:225]
	v_fma_f64 v[203:204], v[203:204], s[16:17], -v[226:227]
	;; [unrolled: 1-line block ×4, first 2 shown]
	v_add_f64 v[156:157], v[156:157], v[209:210]
	v_add_f64 v[158:159], v[158:159], v[211:212]
	v_fma_f64 v[205:206], v[195:196], s[22:23], v[205:206]
	v_fma_f64 v[207:208], v[174:175], s[22:23], v[207:208]
	;; [unrolled: 1-line block ×6, first 2 shown]
	v_add_f64 v[234:235], v[234:235], v[211:212]
	v_add_f64 v[224:225], v[220:221], v[209:210]
	;; [unrolled: 1-line block ×4, first 2 shown]
	v_add_f64 v[248:249], v[158:159], -v[195:196]
	v_add_f64 v[246:247], v[174:175], v[156:157]
	v_add_f64 v[228:229], v[156:157], -v[174:175]
	v_add_f64 v[230:231], v[195:196], v[158:159]
	v_add_f64 v[156:157], v[181:182], v[170:171]
	;; [unrolled: 1-line block ×3, first 2 shown]
	v_add_f64 v[195:196], v[187:188], -v[172:173]
	v_add_f64 v[172:173], v[183:184], v[166:167]
	v_add_f64 v[174:175], v[189:190], v[168:169]
	v_add_f64 v[181:182], v[181:182], -v[170:171]
	v_add_f64 v[166:167], v[183:184], -v[166:167]
	;; [unrolled: 1-line block ×3, first 2 shown]
	v_add_f64 v[187:188], v[185:186], v[193:194]
	v_add_f64 v[189:190], v[191:192], v[164:165]
	v_add_f64 v[185:186], v[193:194], -v[185:186]
	v_add_f64 v[164:165], v[164:165], -v[191:192]
	v_add_f64 v[191:192], v[172:173], v[156:157]
	v_add_f64 v[193:194], v[174:175], v[158:159]
	v_add_f64 v[253:254], v[234:235], -v[205:206]
	v_add_f64 v[220:221], v[224:225], -v[203:204]
	v_add_f64 v[222:223], v[201:202], v[226:227]
	v_add_f64 v[224:225], v[203:204], v[224:225]
	v_add_f64 v[226:227], v[226:227], -v[201:202]
	v_add_f64 v[234:235], v[205:206], v[234:235]
	v_add_f64 v[168:169], v[172:173], -v[156:157]
	v_add_f64 v[170:171], v[174:175], -v[158:159]
	;; [unrolled: 1-line block ×4, first 2 shown]
	v_add_f64 v[197:198], v[185:186], v[166:167]
	v_add_f64 v[199:200], v[164:165], v[183:184]
	v_add_f64 v[201:202], v[185:186], -v[166:167]
	v_add_f64 v[203:204], v[164:165], -v[183:184]
	;; [unrolled: 1-line block ×5, first 2 shown]
	v_add_f64 v[209:210], v[187:188], v[191:192]
	v_add_f64 v[193:194], v[189:190], v[193:194]
	;; [unrolled: 1-line block ×3, first 2 shown]
	v_add_f64 v[232:233], v[232:233], -v[207:208]
	v_add_f64 v[172:173], v[187:188], -v[172:173]
	;; [unrolled: 1-line block ×4, first 2 shown]
	v_add_f64 v[187:188], v[197:198], v[181:182]
	v_add_f64 v[189:190], v[199:200], v[195:196]
	;; [unrolled: 1-line block ×4, first 2 shown]
	v_mul_f64 v[152:153], v[156:157], s[6:7]
	v_mul_f64 v[154:155], v[158:159], s[6:7]
	;; [unrolled: 1-line block ×6, first 2 shown]
	v_fma_f64 v[183:184], v[209:210], s[18:19], v[164:165]
	v_fma_f64 v[193:194], v[193:194], s[18:19], v[166:167]
	;; [unrolled: 1-line block ×4, first 2 shown]
	v_fma_f64 v[152:153], v[168:169], s[20:21], -v[152:153]
	v_fma_f64 v[154:155], v[170:171], s[20:21], -v[154:155]
	v_fma_f64 v[201:202], v[205:206], s[26:27], v[191:192]
	v_fma_f64 v[209:210], v[207:208], s[26:27], v[181:182]
	v_fma_f64 v[211:212], v[205:206], s[24:25], -v[195:196]
	v_fma_f64 v[236:237], v[207:208], s[24:25], -v[185:186]
	v_add_f64 v[197:198], v[156:157], v[183:184]
	v_add_f64 v[199:200], v[158:159], v[193:194]
	;; [unrolled: 1-line block ×4, first 2 shown]
	v_fma_f64 v[203:204], v[187:188], s[22:23], v[201:202]
	v_fma_f64 v[201:202], v[189:190], s[22:23], v[209:210]
	;; [unrolled: 1-line block ×4, first 2 shown]
	ds_write_b128 v213, v[160:163]
	ds_write_b128 v213, v[251:254] offset:1536
	ds_write_b128 v213, v[246:249] offset:3072
	;; [unrolled: 1-line block ×6, first 2 shown]
	v_add_f64 v[158:159], v[203:204], v[199:200]
	v_add_f64 v[156:157], v[197:198], -v[201:202]
	v_add_f64 v[154:155], v[209:210], v[207:208]
	v_add_f64 v[152:153], v[205:206], -v[211:212]
	s_and_saveexec_b64 s[6:7], vcc
	s_cbranch_execz .LBB0_5
; %bb.4:
	v_mul_f64 v[160:161], v[174:175], s[0:1]
	v_mul_f64 v[162:163], v[170:171], s[4:5]
	v_mul_f64 v[170:171], v[172:173], s[0:1]
	v_mul_f64 v[168:169], v[168:169], s[4:5]
	v_mul_f64 v[172:173], v[187:188], s[22:23]
	v_mul_f64 v[174:175], v[189:190], s[22:23]
	v_add_f64 v[187:188], v[195:196], -v[191:192]
	v_add_f64 v[160:161], v[162:163], -v[160:161]
	;; [unrolled: 1-line block ×5, first 2 shown]
	v_add_f64 v[172:173], v[172:173], v[187:188]
	v_add_f64 v[181:182], v[160:161], v[193:194]
	v_add_f64 v[185:186], v[174:175], v[162:163]
	v_add_f64 v[187:188], v[168:169], v[183:184]
	v_add_f64 v[168:169], v[201:202], v[197:198]
	v_add_f64 v[162:163], v[207:208], -v[209:210]
	v_add_f64 v[160:161], v[211:212], v[205:206]
	v_add_f64 v[174:175], v[181:182], -v[172:173]
	v_add_f64 v[183:184], v[172:173], v[181:182]
	;; [unrolled: 2-line block ×3, first 2 shown]
	ds_write_b128 v213, v[164:167] offset:896
	ds_write_b128 v213, v[152:155] offset:8576
	;; [unrolled: 1-line block ×7, first 2 shown]
.LBB0_5:
	s_or_b64 exec, exec, s[6:7]
	s_add_u32 s4, s12, 0x2a00
	s_addc_u32 s5, s13, 0
	v_lshlrev_b32_e32 v174, 4, v214
	v_add_co_u32_e64 v175, s[0:1], s4, v174
	v_mov_b32_e32 v164, s5
	s_waitcnt lgkmcnt(0)
	; wave barrier
	s_waitcnt lgkmcnt(0)
	v_addc_co_u32_e64 v181, s[0:1], 0, v164, s[0:1]
	global_load_dwordx4 v[164:167], v174, s[4:5]
	ds_read_b128 v[160:163], v213
	s_movk_i32 s0, 0x1000
	v_add_co_u32_e64 v172, s[0:1], s0, v175
	v_addc_co_u32_e64 v173, s[0:1], 0, v181, s[0:1]
	s_movk_i32 s0, 0x2000
	s_waitcnt vmcnt(0) lgkmcnt(0)
	v_mul_f64 v[168:169], v[162:163], v[166:167]
	v_fma_f64 v[168:169], v[160:161], v[164:165], -v[168:169]
	v_mul_f64 v[160:161], v[160:161], v[166:167]
	v_fma_f64 v[170:171], v[162:163], v[164:165], v[160:161]
	global_load_dwordx4 v[164:167], v[172:173], off offset:1280
	ds_read_b128 v[160:163], v213 offset:5376
	ds_write_b128 v213, v[168:171]
	s_waitcnt vmcnt(0) lgkmcnt(1)
	v_mul_f64 v[168:169], v[162:163], v[166:167]
	v_fma_f64 v[168:169], v[160:161], v[164:165], -v[168:169]
	v_mul_f64 v[160:161], v[160:161], v[166:167]
	v_fma_f64 v[170:171], v[162:163], v[164:165], v[160:161]
	global_load_dwordx4 v[164:167], v174, s[4:5] offset:896
	ds_read_b128 v[160:163], v213 offset:896
	ds_write_b128 v213, v[168:171] offset:5376
	s_waitcnt vmcnt(0) lgkmcnt(1)
	v_mul_f64 v[168:169], v[162:163], v[166:167]
	v_fma_f64 v[168:169], v[160:161], v[164:165], -v[168:169]
	v_mul_f64 v[160:161], v[160:161], v[166:167]
	v_fma_f64 v[170:171], v[162:163], v[164:165], v[160:161]
	global_load_dwordx4 v[164:167], v[172:173], off offset:2176
	ds_read_b128 v[160:163], v213 offset:6272
	ds_write_b128 v213, v[168:171] offset:896
	s_waitcnt vmcnt(0) lgkmcnt(1)
	v_mul_f64 v[168:169], v[162:163], v[166:167]
	v_fma_f64 v[168:169], v[160:161], v[164:165], -v[168:169]
	v_mul_f64 v[160:161], v[160:161], v[166:167]
	v_fma_f64 v[170:171], v[162:163], v[164:165], v[160:161]
	global_load_dwordx4 v[164:167], v174, s[4:5] offset:1792
	ds_read_b128 v[160:163], v213 offset:1792
	ds_write_b128 v213, v[168:171] offset:6272
	s_waitcnt vmcnt(0) lgkmcnt(1)
	v_mul_f64 v[168:169], v[162:163], v[166:167]
	v_fma_f64 v[168:169], v[160:161], v[164:165], -v[168:169]
	v_mul_f64 v[160:161], v[160:161], v[166:167]
	v_fma_f64 v[170:171], v[162:163], v[164:165], v[160:161]
	buffer_load_dword v164, off, s[28:31], 0 offset:80 ; 4-byte Folded Reload
	ds_read_b128 v[160:163], v213 offset:7168
	ds_write_b128 v213, v[168:171] offset:1792
	s_waitcnt vmcnt(0)
	global_load_dwordx4 v[164:167], v164, s[4:5]
	s_waitcnt vmcnt(0) lgkmcnt(1)
	v_mul_f64 v[168:169], v[162:163], v[166:167]
	v_fma_f64 v[168:169], v[160:161], v[164:165], -v[168:169]
	v_mul_f64 v[160:161], v[160:161], v[166:167]
	v_fma_f64 v[170:171], v[162:163], v[164:165], v[160:161]
	global_load_dwordx4 v[164:167], v174, s[4:5] offset:2688
	ds_read_b128 v[160:163], v213 offset:2688
	ds_write_b128 v213, v[168:171] offset:7168
	s_waitcnt vmcnt(0) lgkmcnt(1)
	v_mul_f64 v[168:169], v[162:163], v[166:167]
	v_fma_f64 v[168:169], v[160:161], v[164:165], -v[168:169]
	v_mul_f64 v[160:161], v[160:161], v[166:167]
	v_fma_f64 v[170:171], v[162:163], v[164:165], v[160:161]
	global_load_dwordx4 v[164:167], v[172:173], off offset:3968
	ds_read_b128 v[160:163], v213 offset:8064
	ds_write_b128 v213, v[168:171] offset:2688
	s_waitcnt vmcnt(0) lgkmcnt(1)
	v_mul_f64 v[168:169], v[162:163], v[166:167]
	v_fma_f64 v[168:169], v[160:161], v[164:165], -v[168:169]
	v_mul_f64 v[160:161], v[160:161], v[166:167]
	v_fma_f64 v[170:171], v[162:163], v[164:165], v[160:161]
	global_load_dwordx4 v[164:167], v174, s[4:5] offset:3584
	ds_read_b128 v[160:163], v213 offset:3584
	v_add_co_u32_e64 v174, s[0:1], s0, v175
	v_addc_co_u32_e64 v175, s[0:1], 0, v181, s[0:1]
	s_mov_b32 s0, 0xe8584caa
	ds_write_b128 v213, v[168:171] offset:8064
	s_mov_b32 s1, 0xbfebb67a
	s_mov_b32 s5, 0x3febb67a
	;; [unrolled: 1-line block ×3, first 2 shown]
	s_waitcnt vmcnt(0) lgkmcnt(1)
	v_mul_f64 v[168:169], v[162:163], v[166:167]
	v_fma_f64 v[168:169], v[160:161], v[164:165], -v[168:169]
	v_mul_f64 v[160:161], v[160:161], v[166:167]
	v_fma_f64 v[170:171], v[162:163], v[164:165], v[160:161]
	global_load_dwordx4 v[164:167], v[174:175], off offset:768
	ds_read_b128 v[160:163], v213 offset:8960
	ds_write_b128 v213, v[168:171] offset:3584
	s_waitcnt vmcnt(0) lgkmcnt(1)
	v_mul_f64 v[168:169], v[162:163], v[166:167]
	v_fma_f64 v[168:169], v[160:161], v[164:165], -v[168:169]
	v_mul_f64 v[160:161], v[160:161], v[166:167]
	v_fma_f64 v[170:171], v[162:163], v[164:165], v[160:161]
	global_load_dwordx4 v[164:167], v[172:173], off offset:384
	ds_read_b128 v[160:163], v213 offset:4480
	ds_write_b128 v213, v[168:171] offset:8960
	s_waitcnt vmcnt(0) lgkmcnt(1)
	v_mul_f64 v[168:169], v[162:163], v[166:167]
	v_fma_f64 v[168:169], v[160:161], v[164:165], -v[168:169]
	v_mul_f64 v[160:161], v[160:161], v[166:167]
	v_fma_f64 v[170:171], v[162:163], v[164:165], v[160:161]
	global_load_dwordx4 v[164:167], v[174:175], off offset:1664
	ds_read_b128 v[160:163], v213 offset:9856
	ds_write_b128 v213, v[168:171] offset:4480
	s_waitcnt vmcnt(0) lgkmcnt(1)
	v_mul_f64 v[168:169], v[162:163], v[166:167]
	v_fma_f64 v[168:169], v[160:161], v[164:165], -v[168:169]
	v_mul_f64 v[160:161], v[160:161], v[166:167]
	v_fma_f64 v[170:171], v[162:163], v[164:165], v[160:161]
	ds_write_b128 v213, v[168:171] offset:9856
	s_waitcnt lgkmcnt(0)
	; wave barrier
	s_waitcnt lgkmcnt(0)
	ds_read_b128 v[160:163], v213
	ds_read_b128 v[164:167], v213 offset:5376
	ds_read_b128 v[168:171], v213 offset:896
	;; [unrolled: 1-line block ×11, first 2 shown]
	s_waitcnt lgkmcnt(10)
	v_add_f64 v[164:165], v[160:161], -v[164:165]
	v_add_f64 v[166:167], v[162:163], -v[166:167]
	s_waitcnt lgkmcnt(8)
	v_add_f64 v[172:173], v[168:169], -v[172:173]
	v_add_f64 v[174:175], v[170:171], -v[174:175]
	s_waitcnt lgkmcnt(0)
	; wave barrier
	s_waitcnt lgkmcnt(0)
	v_add_f64 v[185:186], v[181:182], -v[185:186]
	v_add_f64 v[187:188], v[183:184], -v[187:188]
	v_fma_f64 v[160:161], v[160:161], 2.0, -v[164:165]
	v_fma_f64 v[162:163], v[162:163], 2.0, -v[166:167]
	;; [unrolled: 1-line block ×4, first 2 shown]
	ds_write_b128 v244, v[160:163]
	ds_write_b128 v244, v[164:167] offset:16
	ds_write_b128 v245, v[168:171]
	ds_write_b128 v245, v[172:175] offset:16
	buffer_load_dword v160, off, s[28:31], 0 offset:64 ; 4-byte Folded Reload
	v_fma_f64 v[181:182], v[181:182], 2.0, -v[185:186]
	v_fma_f64 v[183:184], v[183:184], 2.0, -v[187:188]
	v_add_f64 v[193:194], v[189:190], -v[193:194]
	v_add_f64 v[195:196], v[191:192], -v[195:196]
	v_add_f64 v[201:202], v[197:198], -v[201:202]
	v_add_f64 v[203:204], v[199:200], -v[203:204]
	v_add_f64 v[209:210], v[205:206], -v[209:210]
	v_add_f64 v[211:212], v[207:208], -v[211:212]
	s_waitcnt vmcnt(0)
	ds_write_b128 v160, v[181:184]
	ds_write_b128 v160, v[185:188] offset:16
	buffer_load_dword v160, off, s[28:31], 0 offset:68 ; 4-byte Folded Reload
	v_fma_f64 v[189:190], v[189:190], 2.0, -v[193:194]
	v_fma_f64 v[191:192], v[191:192], 2.0, -v[195:196]
	v_fma_f64 v[197:198], v[197:198], 2.0, -v[201:202]
	v_fma_f64 v[199:200], v[199:200], 2.0, -v[203:204]
	v_fma_f64 v[205:206], v[205:206], 2.0, -v[209:210]
	v_fma_f64 v[207:208], v[207:208], 2.0, -v[211:212]
	s_waitcnt vmcnt(0)
	ds_write_b128 v160, v[189:192]
	ds_write_b128 v160, v[193:196] offset:16
	buffer_load_dword v160, off, s[28:31], 0 offset:72 ; 4-byte Folded Reload
	s_waitcnt vmcnt(0)
	ds_write_b128 v160, v[197:200]
	ds_write_b128 v160, v[201:204] offset:16
	buffer_load_dword v160, off, s[28:31], 0 offset:76 ; 4-byte Folded Reload
	s_waitcnt vmcnt(0)
	ds_write_b128 v160, v[205:208]
	ds_write_b128 v160, v[209:212] offset:16
	s_waitcnt lgkmcnt(0)
	; wave barrier
	s_waitcnt lgkmcnt(0)
	ds_read_b128 v[160:163], v213
	ds_read_b128 v[164:167], v213 offset:5376
	ds_read_b128 v[168:171], v213 offset:896
	;; [unrolled: 1-line block ×11, first 2 shown]
	s_waitcnt lgkmcnt(10)
	v_mul_f64 v[220:221], v[150:151], v[166:167]
	s_waitcnt lgkmcnt(0)
	; wave barrier
	s_waitcnt lgkmcnt(0)
	v_fma_f64 v[220:221], v[148:149], v[164:165], v[220:221]
	v_mul_f64 v[164:165], v[150:151], v[164:165]
	v_fma_f64 v[164:165], v[148:149], v[166:167], -v[164:165]
	v_mul_f64 v[166:167], v[150:151], v[174:175]
	v_fma_f64 v[166:167], v[148:149], v[172:173], v[166:167]
	v_mul_f64 v[172:173], v[150:151], v[172:173]
	v_fma_f64 v[172:173], v[148:149], v[174:175], -v[172:173]
	v_mul_f64 v[174:175], v[150:151], v[187:188]
	v_fma_f64 v[174:175], v[148:149], v[185:186], v[174:175]
	v_mul_f64 v[185:186], v[150:151], v[185:186]
	v_fma_f64 v[185:186], v[148:149], v[187:188], -v[185:186]
	v_mul_f64 v[187:188], v[150:151], v[195:196]
	v_fma_f64 v[187:188], v[148:149], v[193:194], v[187:188]
	v_mul_f64 v[193:194], v[150:151], v[193:194]
	v_fma_f64 v[193:194], v[148:149], v[195:196], -v[193:194]
	v_mul_f64 v[195:196], v[150:151], v[203:204]
	v_fma_f64 v[195:196], v[148:149], v[201:202], v[195:196]
	v_mul_f64 v[201:202], v[150:151], v[201:202]
	v_fma_f64 v[201:202], v[148:149], v[203:204], -v[201:202]
	v_mul_f64 v[203:204], v[150:151], v[211:212]
	v_mul_f64 v[150:151], v[150:151], v[209:210]
	v_fma_f64 v[203:204], v[148:149], v[209:210], v[203:204]
	v_fma_f64 v[209:210], v[148:149], v[211:212], -v[150:151]
	v_add_f64 v[148:149], v[160:161], -v[220:221]
	v_add_f64 v[150:151], v[162:163], -v[164:165]
	;; [unrolled: 1-line block ×12, first 2 shown]
	v_fma_f64 v[160:161], v[160:161], 2.0, -v[148:149]
	v_fma_f64 v[162:163], v[162:163], 2.0, -v[150:151]
	;; [unrolled: 1-line block ×12, first 2 shown]
	ds_write_b128 v238, v[160:163]
	ds_write_b128 v238, v[148:151] offset:32
	ds_write_b128 v239, v[168:171]
	ds_write_b128 v239, v[164:167] offset:32
	;; [unrolled: 2-line block ×6, first 2 shown]
	s_waitcnt lgkmcnt(0)
	; wave barrier
	s_waitcnt lgkmcnt(0)
	ds_read_b128 v[148:151], v213
	ds_read_b128 v[160:163], v213 offset:5376
	ds_read_b128 v[164:167], v213 offset:896
	;; [unrolled: 1-line block ×11, first 2 shown]
	s_waitcnt lgkmcnt(10)
	v_mul_f64 v[209:210], v[110:111], v[162:163]
	s_waitcnt lgkmcnt(0)
	; wave barrier
	s_waitcnt lgkmcnt(0)
	v_fma_f64 v[209:210], v[108:109], v[160:161], v[209:210]
	v_mul_f64 v[160:161], v[110:111], v[160:161]
	v_fma_f64 v[160:161], v[108:109], v[162:163], -v[160:161]
	v_mul_f64 v[162:163], v[110:111], v[170:171]
	v_fma_f64 v[162:163], v[108:109], v[168:169], v[162:163]
	v_mul_f64 v[168:169], v[110:111], v[168:169]
	v_fma_f64 v[168:169], v[108:109], v[170:171], -v[168:169]
	v_mul_f64 v[170:171], v[110:111], v[183:184]
	;; [unrolled: 4-line block ×5, first 2 shown]
	v_mul_f64 v[110:111], v[110:111], v[205:206]
	v_fma_f64 v[199:200], v[108:109], v[205:206], v[199:200]
	v_fma_f64 v[205:206], v[108:109], v[207:208], -v[110:111]
	v_add_f64 v[110:111], v[150:151], -v[160:161]
	v_add_f64 v[160:161], v[164:165], -v[162:163]
	;; [unrolled: 1-line block ×11, first 2 shown]
	buffer_load_dword v205, off, s[28:31], 0 offset:48 ; 4-byte Folded Reload
	v_add_f64 v[108:109], v[148:149], -v[209:210]
	v_fma_f64 v[150:151], v[150:151], 2.0, -v[110:111]
	v_fma_f64 v[164:165], v[164:165], 2.0, -v[160:161]
	;; [unrolled: 1-line block ×8, first 2 shown]
	s_waitcnt vmcnt(0)
	ds_write_b128 v205, v[148:151]
	ds_write_b128 v205, v[108:111] offset:64
	buffer_load_dword v108, off, s[28:31], 0 offset:56 ; 4-byte Folded Reload
	v_fma_f64 v[193:194], v[193:194], 2.0, -v[189:190]
	v_fma_f64 v[195:196], v[195:196], 2.0, -v[191:192]
	;; [unrolled: 1-line block ×3, first 2 shown]
	s_waitcnt vmcnt(0)
	ds_write_b128 v108, v[164:167]
	ds_write_b128 v108, v[160:163] offset:64
	ds_write_b128 v215, v[172:175]
	ds_write_b128 v215, v[168:171] offset:64
	buffer_load_dword v108, off, s[28:31], 0 offset:60 ; 4-byte Folded Reload
	v_fma_f64 v[203:204], v[203:204], 2.0, -v[199:200]
	s_waitcnt vmcnt(0)
	ds_write_b128 v108, v[185:188]
	ds_write_b128 v108, v[181:184] offset:64
	ds_write_b128 v255, v[193:196]
	ds_write_b128 v255, v[189:192] offset:64
	;; [unrolled: 2-line block ×3, first 2 shown]
	s_waitcnt lgkmcnt(0)
	; wave barrier
	s_waitcnt lgkmcnt(0)
	ds_read_b128 v[108:111], v213
	ds_read_b128 v[148:151], v213 offset:5376
	ds_read_b128 v[160:163], v213 offset:896
	ds_read_b128 v[164:167], v213 offset:6272
	ds_read_b128 v[168:171], v213 offset:1792
	ds_read_b128 v[172:175], v213 offset:7168
	ds_read_b128 v[181:184], v213 offset:2688
	ds_read_b128 v[185:188], v213 offset:8064
	ds_read_b128 v[189:192], v213 offset:3584
	ds_read_b128 v[193:196], v213 offset:8960
	ds_read_b128 v[197:200], v213 offset:4480
	ds_read_b128 v[201:204], v213 offset:9856
	s_waitcnt lgkmcnt(10)
	v_mul_f64 v[205:206], v[106:107], v[150:151]
	s_waitcnt lgkmcnt(0)
	; wave barrier
	s_waitcnt lgkmcnt(0)
	v_fma_f64 v[205:206], v[104:105], v[148:149], v[205:206]
	v_mul_f64 v[148:149], v[106:107], v[148:149]
	v_fma_f64 v[148:149], v[104:105], v[150:151], -v[148:149]
	v_mul_f64 v[150:151], v[106:107], v[166:167]
	v_fma_f64 v[150:151], v[104:105], v[164:165], v[150:151]
	v_mul_f64 v[164:165], v[106:107], v[164:165]
	v_fma_f64 v[164:165], v[104:105], v[166:167], -v[164:165]
	v_mul_f64 v[166:167], v[106:107], v[174:175]
	;; [unrolled: 4-line block ×5, first 2 shown]
	v_mul_f64 v[106:107], v[106:107], v[201:202]
	v_fma_f64 v[195:196], v[104:105], v[201:202], v[195:196]
	v_fma_f64 v[201:202], v[104:105], v[203:204], -v[106:107]
	v_add_f64 v[106:107], v[110:111], -v[148:149]
	v_add_f64 v[148:149], v[160:161], -v[150:151]
	;; [unrolled: 1-line block ×11, first 2 shown]
	buffer_load_dword v201, off, s[28:31], 0 offset:4 ; 4-byte Folded Reload
	v_add_f64 v[104:105], v[108:109], -v[205:206]
	v_fma_f64 v[110:111], v[110:111], 2.0, -v[106:107]
	v_fma_f64 v[160:161], v[160:161], 2.0, -v[148:149]
	;; [unrolled: 1-line block ×8, first 2 shown]
	s_waitcnt vmcnt(0)
	ds_write_b128 v201, v[108:111]
	ds_write_b128 v201, v[104:107] offset:128
	buffer_load_dword v104, off, s[28:31], 0 offset:8 ; 4-byte Folded Reload
	s_waitcnt vmcnt(0)
	ds_write_b128 v104, v[160:163]
	ds_write_b128 v104, v[148:151] offset:128
	buffer_load_dword v104, off, s[28:31], 0 offset:12 ; 4-byte Folded Reload
	;; [unrolled: 4-line block ×4, first 2 shown]
	v_fma_f64 v[189:190], v[189:190], 2.0, -v[185:186]
	v_fma_f64 v[191:192], v[191:192], 2.0, -v[187:188]
	s_waitcnt vmcnt(0)
	ds_write_b128 v104, v[189:192]
	ds_write_b128 v104, v[185:188] offset:128
	buffer_load_dword v104, off, s[28:31], 0 offset:24 ; 4-byte Folded Reload
	v_fma_f64 v[197:198], v[197:198], 2.0, -v[193:194]
	v_fma_f64 v[199:200], v[199:200], 2.0, -v[195:196]
	s_waitcnt vmcnt(0)
	ds_write_b128 v104, v[197:200]
	ds_write_b128 v104, v[193:196] offset:128
	s_waitcnt lgkmcnt(0)
	; wave barrier
	s_waitcnt lgkmcnt(0)
	ds_read_b128 v[104:107], v213
	ds_read_b128 v[108:111], v213 offset:5376
	ds_read_b128 v[148:151], v213 offset:896
	;; [unrolled: 1-line block ×11, first 2 shown]
	s_waitcnt lgkmcnt(10)
	v_mul_f64 v[201:202], v[98:99], v[110:111]
	s_waitcnt lgkmcnt(0)
	; wave barrier
	s_waitcnt lgkmcnt(0)
	v_fma_f64 v[201:202], v[96:97], v[108:109], v[201:202]
	v_mul_f64 v[108:109], v[98:99], v[108:109]
	v_fma_f64 v[108:109], v[96:97], v[110:111], -v[108:109]
	v_mul_f64 v[110:111], v[102:103], v[162:163]
	v_mul_f64 v[102:103], v[102:103], v[160:161]
	v_fma_f64 v[110:111], v[179:180], v[160:161], v[110:111]
	v_fma_f64 v[160:161], v[179:180], v[162:163], -v[102:103]
	v_mul_f64 v[102:103], v[98:99], v[170:171]
	v_fma_f64 v[162:163], v[96:97], v[168:169], v[102:103]
	v_mul_f64 v[102:103], v[98:99], v[168:169]
	v_fma_f64 v[168:169], v[96:97], v[170:171], -v[102:103]
	v_mul_f64 v[102:103], v[146:147], v[183:184]
	v_fma_f64 v[170:171], v[144:145], v[181:182], v[102:103]
	v_mul_f64 v[102:103], v[146:147], v[181:182]
	v_add_f64 v[146:147], v[166:167], -v[168:169]
	v_fma_f64 v[179:180], v[144:145], v[183:184], -v[102:103]
	v_mul_f64 v[102:103], v[98:99], v[191:192]
	v_mul_f64 v[98:99], v[98:99], v[189:190]
	v_add_f64 v[144:145], v[164:165], -v[162:163]
	v_add_f64 v[162:163], v[174:175], -v[179:180]
	v_fma_f64 v[181:182], v[96:97], v[189:190], v[102:103]
	v_fma_f64 v[183:184], v[96:97], v[191:192], -v[98:99]
	v_mul_f64 v[96:97], v[177:178], v[199:200]
	v_add_f64 v[98:99], v[106:107], -v[108:109]
	v_add_f64 v[168:169], v[185:186], -v[181:182]
	v_fma_f64 v[189:190], v[100:101], v[197:198], v[96:97]
	v_mul_f64 v[96:97], v[177:178], v[197:198]
	v_fma_f64 v[102:103], v[106:107], 2.0, -v[98:99]
	v_add_f64 v[106:107], v[150:151], -v[160:161]
	v_add_f64 v[160:161], v[172:173], -v[170:171]
	;; [unrolled: 1-line block ×4, first 2 shown]
	v_fma_f64 v[191:192], v[100:101], v[199:200], -v[96:97]
	v_add_f64 v[96:97], v[104:105], -v[201:202]
	v_fma_f64 v[181:182], v[193:194], 2.0, -v[177:178]
	v_add_f64 v[179:180], v[195:196], -v[191:192]
	v_fma_f64 v[100:101], v[104:105], 2.0, -v[96:97]
	;; [unrolled: 2-line block ×3, first 2 shown]
	v_fma_f64 v[150:151], v[166:167], 2.0, -v[146:147]
	v_fma_f64 v[166:167], v[174:175], 2.0, -v[162:163]
	;; [unrolled: 1-line block ×8, first 2 shown]
	buffer_load_dword v185, off, s[28:31], 0 offset:28 ; 4-byte Folded Reload
	s_waitcnt vmcnt(0)
	ds_write_b128 v185, v[100:103]
	ds_write_b128 v185, v[96:99] offset:256
	buffer_load_dword v96, off, s[28:31], 0 offset:32 ; 4-byte Folded Reload
	s_waitcnt vmcnt(0)
	ds_write_b128 v96, v[108:111]
	ds_write_b128 v96, v[104:107] offset:256
	;; [unrolled: 4-line block ×6, first 2 shown]
	s_waitcnt lgkmcnt(0)
	; wave barrier
	s_waitcnt lgkmcnt(0)
	ds_read_b128 v[96:99], v213
	ds_read_b128 v[100:103], v213 offset:3584
	ds_read_b128 v[104:107], v213 offset:7168
	;; [unrolled: 1-line block ×11, first 2 shown]
	s_waitcnt lgkmcnt(10)
	v_mul_f64 v[185:186], v[130:131], v[102:103]
	s_waitcnt lgkmcnt(0)
	; wave barrier
	s_waitcnt lgkmcnt(0)
	v_fma_f64 v[185:186], v[128:129], v[100:101], v[185:186]
	v_mul_f64 v[100:101], v[130:131], v[100:101]
	v_fma_f64 v[100:101], v[128:129], v[102:103], -v[100:101]
	v_mul_f64 v[102:103], v[114:115], v[106:107]
	v_fma_f64 v[102:103], v[112:113], v[104:105], v[102:103]
	v_mul_f64 v[104:105], v[114:115], v[104:105]
	v_mul_f64 v[114:115], v[134:135], v[162:163]
	v_fma_f64 v[104:105], v[112:113], v[106:107], -v[104:105]
	v_mul_f64 v[106:107], v[122:123], v[150:151]
	v_mul_f64 v[112:113], v[122:123], v[148:149]
	v_fma_f64 v[114:115], v[132:133], v[160:161], v[114:115]
	v_fma_f64 v[106:107], v[120:121], v[148:149], v[106:107]
	v_fma_f64 v[112:113], v[120:121], v[150:151], -v[112:113]
	v_mul_f64 v[120:121], v[134:135], v[160:161]
	v_fma_f64 v[134:135], v[132:133], v[162:163], -v[120:121]
	v_mul_f64 v[120:121], v[138:139], v[170:171]
	v_fma_f64 v[148:149], v[136:137], v[168:169], v[120:121]
	v_mul_f64 v[120:121], v[138:139], v[168:169]
	v_fma_f64 v[150:151], v[136:137], v[170:171], -v[120:121]
	v_mul_f64 v[120:121], v[118:119], v[174:175]
	v_mul_f64 v[118:119], v[118:119], v[172:173]
	v_fma_f64 v[160:161], v[116:117], v[172:173], v[120:121]
	v_fma_f64 v[162:163], v[116:117], v[174:175], -v[118:119]
	v_mul_f64 v[116:117], v[126:127], v[179:180]
	v_add_f64 v[118:119], v[185:186], v[102:103]
	v_fma_f64 v[168:169], v[124:125], v[177:178], v[116:117]
	v_mul_f64 v[116:117], v[126:127], v[177:178]
	v_fma_f64 v[170:171], v[124:125], v[179:180], -v[116:117]
	v_mul_f64 v[116:117], v[142:143], v[183:184]
	v_fma_f64 v[172:173], v[140:141], v[181:182], v[116:117]
	v_mul_f64 v[116:117], v[142:143], v[181:182]
	v_fma_f64 v[174:175], v[140:141], v[183:184], -v[116:117]
	v_add_f64 v[116:117], v[96:97], v[185:186]
	v_fma_f64 v[96:97], v[118:119], -0.5, v[96:97]
	v_add_f64 v[118:119], v[100:101], -v[104:105]
	v_add_f64 v[116:117], v[116:117], v[102:103]
	v_fma_f64 v[120:121], v[118:119], s[0:1], v[96:97]
	v_fma_f64 v[124:125], v[118:119], s[4:5], v[96:97]
	v_add_f64 v[96:97], v[98:99], v[100:101]
	v_add_f64 v[118:119], v[96:97], v[104:105]
	;; [unrolled: 1-line block ×3, first 2 shown]
	v_add_f64 v[100:101], v[150:151], -v[162:163]
	v_add_f64 v[104:105], v[148:149], -v[160:161]
	v_fma_f64 v[96:97], v[96:97], -0.5, v[98:99]
	v_add_f64 v[98:99], v[185:186], -v[102:103]
	v_fma_f64 v[122:123], v[98:99], s[4:5], v[96:97]
	v_fma_f64 v[126:127], v[98:99], s[0:1], v[96:97]
	v_add_f64 v[96:97], v[144:145], v[106:107]
	v_add_f64 v[98:99], v[112:113], -v[134:135]
	v_add_f64 v[128:129], v[96:97], v[114:115]
	v_add_f64 v[96:97], v[106:107], v[114:115]
	v_fma_f64 v[96:97], v[96:97], -0.5, v[144:145]
	v_add_f64 v[144:145], v[168:169], -v[172:173]
	v_fma_f64 v[132:133], v[98:99], s[0:1], v[96:97]
	v_fma_f64 v[136:137], v[98:99], s[4:5], v[96:97]
	v_add_f64 v[96:97], v[146:147], v[112:113]
	v_add_f64 v[98:99], v[106:107], -v[114:115]
	v_add_f64 v[106:107], v[168:169], v[172:173]
	v_add_f64 v[114:115], v[170:171], v[174:175]
	;; [unrolled: 1-line block ×4, first 2 shown]
	v_fma_f64 v[106:107], v[106:107], -0.5, v[108:109]
	v_add_f64 v[112:113], v[170:171], -v[174:175]
	v_fma_f64 v[114:115], v[114:115], -0.5, v[110:111]
	v_fma_f64 v[96:97], v[96:97], -0.5, v[146:147]
	v_fma_f64 v[134:135], v[98:99], s[4:5], v[96:97]
	v_fma_f64 v[138:139], v[98:99], s[0:1], v[96:97]
	v_add_f64 v[96:97], v[164:165], v[148:149]
	v_add_f64 v[140:141], v[96:97], v[160:161]
	;; [unrolled: 1-line block ×3, first 2 shown]
	v_fma_f64 v[98:99], v[96:97], -0.5, v[164:165]
	v_fma_f64 v[96:97], v[100:101], s[0:1], v[98:99]
	v_fma_f64 v[100:101], v[100:101], s[4:5], v[98:99]
	v_add_f64 v[98:99], v[166:167], v[150:151]
	v_add_f64 v[142:143], v[98:99], v[162:163]
	;; [unrolled: 1-line block ×3, first 2 shown]
	v_fma_f64 v[102:103], v[98:99], -0.5, v[166:167]
	v_fma_f64 v[98:99], v[104:105], s[4:5], v[102:103]
	v_fma_f64 v[102:103], v[104:105], s[0:1], v[102:103]
	v_add_f64 v[104:105], v[108:109], v[168:169]
	v_fma_f64 v[108:109], v[112:113], s[0:1], v[106:107]
	v_fma_f64 v[112:113], v[112:113], s[4:5], v[106:107]
	v_add_f64 v[106:107], v[110:111], v[170:171]
	;; [unrolled: 3-line block ×3, first 2 shown]
	v_add_f64 v[106:107], v[106:107], v[174:175]
	ds_write_b128 v216, v[116:119]
	ds_write_b128 v216, v[120:123] offset:512
	ds_write_b128 v216, v[124:127] offset:1024
	ds_write_b128 v217, v[128:131]
	ds_write_b128 v217, v[132:135] offset:512
	ds_write_b128 v217, v[136:139] offset:1024
	;; [unrolled: 3-line block ×4, first 2 shown]
	s_waitcnt lgkmcnt(0)
	; wave barrier
	s_waitcnt lgkmcnt(0)
	ds_read_b128 v[116:119], v213
	ds_read_b128 v[140:143], v213 offset:1536
	ds_read_b128 v[136:139], v213 offset:3072
	;; [unrolled: 1-line block ×6, first 2 shown]
	s_and_saveexec_b64 s[0:1], vcc
	s_cbranch_execz .LBB0_7
; %bb.6:
	ds_read_b128 v[96:99], v213 offset:896
	ds_read_b128 v[100:103], v213 offset:2432
	;; [unrolled: 1-line block ×7, first 2 shown]
.LBB0_7:
	s_or_b64 exec, exec, s[0:1]
	s_waitcnt lgkmcnt(5)
	v_mul_f64 v[144:145], v[74:75], v[142:143]
	v_mul_f64 v[74:75], v[74:75], v[140:141]
	s_waitcnt lgkmcnt(4)
	v_mul_f64 v[146:147], v[70:71], v[138:139]
	v_mul_f64 v[70:71], v[70:71], v[136:137]
	s_waitcnt lgkmcnt(0)
	v_mul_f64 v[148:149], v[86:87], v[134:135]
	s_mov_b32 s12, 0x37e14327
	s_mov_b32 s4, 0x36b3c0b5
	;; [unrolled: 1-line block ×3, first 2 shown]
	v_fma_f64 v[140:141], v[72:73], v[140:141], v[144:145]
	v_fma_f64 v[72:73], v[72:73], v[142:143], -v[74:75]
	v_fma_f64 v[74:75], v[68:69], v[136:137], v[146:147]
	v_fma_f64 v[68:69], v[68:69], v[138:139], -v[70:71]
	v_mul_f64 v[70:71], v[86:87], v[132:133]
	v_mul_f64 v[86:87], v[66:67], v[126:127]
	;; [unrolled: 1-line block ×7, first 2 shown]
	v_fma_f64 v[132:133], v[84:85], v[132:133], v[148:149]
	v_fma_f64 v[70:71], v[84:85], v[134:135], -v[70:71]
	v_fma_f64 v[84:85], v[64:65], v[124:125], v[86:87]
	v_fma_f64 v[64:65], v[64:65], v[126:127], -v[66:67]
	;; [unrolled: 2-line block ×4, first 2 shown]
	v_add_f64 v[62:63], v[140:141], v[132:133]
	v_add_f64 v[86:87], v[72:73], v[70:71]
	v_add_f64 v[70:71], v[72:73], -v[70:71]
	v_add_f64 v[120:121], v[140:141], -v[132:133]
	v_add_f64 v[72:73], v[74:75], v[66:67]
	v_add_f64 v[122:123], v[68:69], v[80:81]
	v_add_f64 v[66:67], v[74:75], -v[66:67]
	v_add_f64 v[68:69], v[68:69], -v[80:81]
	v_add_f64 v[74:75], v[84:85], v[82:83]
	v_add_f64 v[80:81], v[64:65], v[60:61]
	v_add_f64 v[82:83], v[82:83], -v[84:85]
	v_add_f64 v[60:61], v[60:61], -v[64:65]
	v_add_f64 v[64:65], v[72:73], v[62:63]
	v_add_f64 v[84:85], v[122:123], v[86:87]
	v_add_f64 v[124:125], v[72:73], -v[62:63]
	v_add_f64 v[126:127], v[122:123], -v[86:87]
	v_add_f64 v[128:129], v[62:63], -v[74:75]
	v_add_f64 v[86:87], v[86:87], -v[80:81]
	;; [unrolled: 1-line block ×4, first 2 shown]
	v_add_f64 v[62:63], v[82:83], v[66:67]
	v_add_f64 v[130:131], v[60:61], v[68:69]
	v_add_f64 v[132:133], v[82:83], -v[66:67]
	v_add_f64 v[134:135], v[60:61], -v[68:69]
	v_add_f64 v[64:65], v[74:75], v[64:65]
	v_add_f64 v[74:75], v[80:81], v[84:85]
	v_add_f64 v[66:67], v[66:67], -v[120:121]
	v_add_f64 v[68:69], v[68:69], -v[70:71]
	s_mov_b32 s13, 0x3fe948f6
	s_mov_b32 s5, 0x3fac98ee
	;; [unrolled: 1-line block ×4, first 2 shown]
	v_add_f64 v[80:81], v[120:121], -v[82:83]
	v_add_f64 v[82:83], v[70:71], -v[60:61]
	v_add_f64 v[84:85], v[62:63], v[120:121]
	v_add_f64 v[70:71], v[130:131], v[70:71]
	;; [unrolled: 1-line block ×4, first 2 shown]
	v_mul_f64 v[116:117], v[128:129], s[12:13]
	v_mul_f64 v[86:87], v[86:87], s[12:13]
	;; [unrolled: 1-line block ×6, first 2 shown]
	s_mov_b32 s1, 0xbfebfeb5
	v_mul_f64 v[132:133], v[66:67], s[0:1]
	v_mul_f64 v[134:135], v[68:69], s[0:1]
	s_mov_b32 s22, 0xaaaaaaaa
	s_mov_b32 s6, 0x5476071b
	;; [unrolled: 1-line block ×8, first 2 shown]
	v_fma_f64 v[64:65], v[64:65], s[22:23], v[60:61]
	v_fma_f64 v[74:75], v[74:75], s[22:23], v[62:63]
	;; [unrolled: 1-line block ×4, first 2 shown]
	v_fma_f64 v[118:119], v[124:125], s[6:7], -v[118:119]
	v_fma_f64 v[120:121], v[126:127], s[6:7], -v[120:121]
	;; [unrolled: 1-line block ×4, first 2 shown]
	v_fma_f64 v[124:125], v[80:81], s[24:25], v[128:129]
	v_fma_f64 v[126:127], v[82:83], s[24:25], v[130:131]
	s_mov_b32 s21, 0x3fd5d0dc
	s_mov_b32 s20, s24
	v_fma_f64 v[80:81], v[80:81], s[20:21], -v[132:133]
	v_fma_f64 v[82:83], v[82:83], s[20:21], -v[134:135]
	;; [unrolled: 1-line block ×4, first 2 shown]
	s_mov_b32 s18, 0x37c3f68c
	s_mov_b32 s19, 0xbfdc38aa
	v_add_f64 v[128:129], v[72:73], v[64:65]
	v_add_f64 v[122:123], v[122:123], v[74:75]
	v_fma_f64 v[126:127], v[70:71], s[18:19], v[126:127]
	v_fma_f64 v[124:125], v[84:85], s[18:19], v[124:125]
	v_add_f64 v[116:117], v[116:117], v[64:65]
	v_add_f64 v[86:87], v[86:87], v[74:75]
	v_fma_f64 v[130:131], v[70:71], s[18:19], v[82:83]
	v_fma_f64 v[132:133], v[84:85], s[18:19], v[80:81]
	;; [unrolled: 4-line block ×3, first 2 shown]
	v_add_f64 v[64:65], v[126:127], v[128:129]
	v_add_f64 v[66:67], v[122:123], -v[124:125]
	v_add_f64 v[68:69], v[130:131], v[116:117]
	v_add_f64 v[70:71], v[86:87], -v[132:133]
	v_add_f64 v[84:85], v[116:117], -v[130:131]
	v_add_f64 v[86:87], v[132:133], v[86:87]
	v_add_f64 v[72:73], v[118:119], -v[80:81]
	v_add_f64 v[74:75], v[82:83], v[120:121]
	v_add_f64 v[80:81], v[80:81], v[118:119]
	v_add_f64 v[82:83], v[120:121], -v[82:83]
	v_add_f64 v[116:117], v[128:129], -v[126:127]
	v_add_f64 v[118:119], v[124:125], v[122:123]
	ds_write_b128 v213, v[60:63]
	ds_write_b128 v213, v[64:67] offset:1536
	ds_write_b128 v213, v[68:71] offset:3072
	;; [unrolled: 1-line block ×6, first 2 shown]
	s_and_saveexec_b64 s[26:27], vcc
	s_cbranch_execz .LBB0_9
; %bb.8:
	v_mul_f64 v[60:61], v[50:51], v[114:115]
	v_mul_f64 v[62:63], v[54:55], v[110:111]
	;; [unrolled: 1-line block ×10, first 2 shown]
	v_fma_f64 v[60:61], v[48:49], v[112:113], v[60:61]
	v_fma_f64 v[62:63], v[52:53], v[108:109], v[62:63]
	v_fma_f64 v[68:69], v[88:89], v[158:159], -v[68:69]
	v_fma_f64 v[70:71], v[76:77], v[102:103], -v[70:71]
	v_mul_f64 v[54:55], v[54:55], v[108:109]
	v_mul_f64 v[50:51], v[50:51], v[112:113]
	v_fma_f64 v[72:73], v[92:93], v[154:155], -v[72:73]
	v_fma_f64 v[74:75], v[56:57], v[106:107], -v[74:75]
	v_fma_f64 v[56:57], v[56:57], v[104:105], v[58:59]
	v_fma_f64 v[58:59], v[92:93], v[152:153], v[78:79]
	;; [unrolled: 1-line block ×4, first 2 shown]
	v_fma_f64 v[52:53], v[52:53], v[110:111], -v[54:55]
	v_fma_f64 v[48:49], v[48:49], v[114:115], -v[50:51]
	v_add_f64 v[54:55], v[70:71], v[68:69]
	v_add_f64 v[76:77], v[74:75], v[72:73]
	v_add_f64 v[50:51], v[60:61], -v[62:63]
	v_add_f64 v[78:79], v[56:57], -v[58:59]
	v_add_f64 v[56:57], v[56:57], v[58:59]
	v_add_f64 v[84:85], v[64:65], -v[66:67]
	v_add_f64 v[64:65], v[64:65], v[66:67]
	v_add_f64 v[80:81], v[52:53], v[48:49]
	;; [unrolled: 1-line block ×4, first 2 shown]
	v_add_f64 v[52:53], v[48:49], -v[52:53]
	v_add_f64 v[86:87], v[50:51], -v[78:79]
	v_add_f64 v[88:89], v[50:51], v[78:79]
	v_add_f64 v[72:73], v[74:75], -v[72:73]
	v_add_f64 v[90:91], v[56:57], v[64:65]
	v_add_f64 v[58:59], v[54:55], -v[80:81]
	v_add_f64 v[62:63], v[80:81], -v[76:77]
	v_add_f64 v[66:67], v[80:81], v[82:83]
	v_add_f64 v[82:83], v[84:85], -v[50:51]
	v_mul_f64 v[86:87], v[86:87], s[14:15]
	v_add_f64 v[80:81], v[88:89], v[84:85]
	v_add_f64 v[68:69], v[70:71], -v[68:69]
	v_add_f64 v[88:89], v[60:61], v[90:91]
	v_mul_f64 v[58:59], v[58:59], s[12:13]
	v_add_f64 v[70:71], v[64:65], -v[60:61]
	v_add_f64 v[50:51], v[98:99], v[66:67]
	v_add_f64 v[74:75], v[78:79], -v[84:85]
	v_fma_f64 v[90:91], v[82:83], s[24:25], v[86:87]
	v_add_f64 v[76:77], v[76:77], -v[54:55]
	v_add_f64 v[60:61], v[60:61], -v[56:57]
	v_add_f64 v[48:49], v[96:97], v[88:89]
	v_fma_f64 v[92:93], v[62:63], s[4:5], v[58:59]
	v_add_f64 v[96:97], v[72:73], -v[68:69]
	v_fma_f64 v[66:67], v[66:67], s[22:23], v[50:51]
	v_mul_f64 v[70:71], v[70:71], s[12:13]
	v_fma_f64 v[78:79], v[80:81], s[18:19], v[90:91]
	v_add_f64 v[90:91], v[52:53], -v[72:73]
	v_add_f64 v[94:95], v[68:69], -v[52:53]
	v_add_f64 v[52:53], v[52:53], v[72:73]
	v_mul_f64 v[62:63], v[62:63], s[4:5]
	v_fma_f64 v[58:59], v[76:77], s[16:17], -v[58:59]
	v_add_f64 v[84:85], v[92:93], v[66:67]
	v_mul_f64 v[92:93], v[74:75], s[0:1]
	v_add_f64 v[56:57], v[56:57], -v[64:65]
	v_mul_f64 v[90:91], v[90:91], s[14:15]
	v_mul_f64 v[64:65], v[96:97], s[0:1]
	;; [unrolled: 1-line block ×3, first 2 shown]
	v_fma_f64 v[88:89], v[88:89], s[22:23], v[48:49]
	v_fma_f64 v[60:61], v[60:61], s[4:5], v[70:71]
	v_add_f64 v[52:53], v[52:53], v[68:69]
	v_fma_f64 v[82:83], v[82:83], s[20:21], -v[92:93]
	v_fma_f64 v[68:69], v[74:75], s[0:1], -v[86:87]
	v_fma_f64 v[92:93], v[94:95], s[24:25], v[90:91]
	v_fma_f64 v[62:63], v[76:77], s[6:7], -v[62:63]
	v_add_f64 v[76:77], v[58:59], v[66:67]
	v_fma_f64 v[58:59], v[56:57], s[16:17], -v[70:71]
	v_fma_f64 v[64:65], v[94:95], s[20:21], -v[64:65]
	;; [unrolled: 1-line block ×4, first 2 shown]
	v_fma_f64 v[74:75], v[80:81], s[18:19], v[82:83]
	v_fma_f64 v[68:69], v[80:81], s[18:19], v[68:69]
	v_add_f64 v[80:81], v[60:61], v[88:89]
	v_fma_f64 v[82:83], v[52:53], s[18:19], v[92:93]
	v_add_f64 v[66:67], v[62:63], v[66:67]
	v_add_f64 v[86:87], v[58:59], v[88:89]
	v_fma_f64 v[90:91], v[52:53], s[18:19], v[64:65]
	v_add_f64 v[56:57], v[56:57], v[88:89]
	v_fma_f64 v[52:53], v[52:53], s[18:19], v[70:71]
	v_add_f64 v[58:59], v[74:75], v[76:77]
	v_add_f64 v[70:71], v[76:77], -v[74:75]
	v_add_f64 v[74:75], v[84:85], -v[78:79]
	v_add_f64 v[72:73], v[82:83], v[80:81]
	v_add_f64 v[62:63], v[66:67], -v[68:69]
	v_add_f64 v[66:67], v[68:69], v[66:67]
	v_add_f64 v[68:69], v[90:91], v[86:87]
	v_add_f64 v[64:65], v[56:57], -v[52:53]
	v_add_f64 v[60:61], v[52:53], v[56:57]
	v_add_f64 v[56:57], v[86:87], -v[90:91]
	;; [unrolled: 2-line block ×3, first 2 shown]
	ds_write_b128 v213, v[48:51] offset:896
	ds_write_b128 v213, v[72:75] offset:2432
	;; [unrolled: 1-line block ×7, first 2 shown]
.LBB0_9:
	s_or_b64 exec, exec, s[26:27]
	s_waitcnt lgkmcnt(0)
	; wave barrier
	s_waitcnt lgkmcnt(0)
	ds_read_b128 v[48:51], v213
	ds_read_b128 v[52:55], v213 offset:896
	v_mad_u64_u32 v[58:59], s[0:1], s10, v176, 0
	v_mad_u64_u32 v[60:61], s[4:5], s8, v214, 0
	s_waitcnt lgkmcnt(1)
	v_mul_f64 v[56:57], v[46:47], v[50:51]
	v_mul_f64 v[46:47], v[46:47], v[48:49]
	s_mov_b32 s0, 0x18618618
	s_mov_b32 s1, 0x3f586186
	v_mov_b32_e32 v66, s3
	s_mul_hi_u32 s3, s8, 0x1500
	v_fma_f64 v[48:49], v[44:45], v[48:49], v[56:57]
	v_fma_f64 v[46:47], v[44:45], v[50:51], -v[46:47]
	v_mad_u64_u32 v[44:45], s[4:5], s11, v176, v[59:60]
	v_mov_b32_e32 v45, v61
	v_mov_b32_e32 v59, v44
	v_lshlrev_b64 v[62:63], 4, v[58:59]
	v_mad_u64_u32 v[56:57], s[4:5], s9, v214, v[45:46]
	v_mul_f64 v[44:45], v[48:49], s[0:1]
	ds_read_b128 v[48:51], v213 offset:5376
	v_mov_b32_e32 v61, v56
	ds_read_b128 v[56:59], v213 offset:6272
	v_mul_f64 v[46:47], v[46:47], s[0:1]
	v_add_co_u32_e32 v62, vcc, s2, v62
	s_waitcnt lgkmcnt(1)
	v_mul_f64 v[64:65], v[10:11], v[50:51]
	v_mul_f64 v[10:11], v[10:11], v[48:49]
	v_lshlrev_b64 v[60:61], 4, v[60:61]
	v_addc_co_u32_e32 v63, vcc, v66, v63, vcc
	s_mul_i32 s2, s9, 0x1500
	s_add_i32 s2, s3, s2
	s_mul_i32 s3, s8, 0x1500
	v_fma_f64 v[48:49], v[8:9], v[48:49], v[64:65]
	v_fma_f64 v[10:11], v[8:9], v[50:51], -v[10:11]
	v_add_co_u32_e32 v50, vcc, v62, v60
	v_addc_co_u32_e32 v51, vcc, v63, v61, vcc
	global_store_dwordx4 v[50:51], v[44:47], off
	s_mul_hi_u32 s5, s8, 0xffffee80
	v_mul_f64 v[44:45], v[30:31], v[54:55]
	v_mul_f64 v[30:31], v[30:31], v[52:53]
	v_mul_f64 v[8:9], v[48:49], s[0:1]
	v_mul_f64 v[10:11], v[10:11], s[0:1]
	v_add_co_u32_e32 v46, vcc, s3, v50
	s_mul_i32 s4, s9, 0xffffee80
	s_sub_i32 s5, s5, s8
	v_fma_f64 v[44:45], v[28:29], v[52:53], v[44:45]
	v_fma_f64 v[28:29], v[28:29], v[54:55], -v[30:31]
	v_mov_b32_e32 v30, s2
	v_addc_co_u32_e32 v47, vcc, v51, v30, vcc
	global_store_dwordx4 v[46:47], v[8:11], off
	s_add_i32 s5, s5, s4
	s_mul_i32 s4, s8, 0xffffee80
	v_mul_f64 v[8:9], v[44:45], s[0:1]
	s_waitcnt lgkmcnt(0)
	v_mul_f64 v[44:45], v[42:43], v[58:59]
	v_mul_f64 v[42:43], v[42:43], v[56:57]
	;; [unrolled: 1-line block ×3, first 2 shown]
	ds_read_b128 v[28:31], v213 offset:1792
	v_mov_b32_e32 v52, s5
	v_add_co_u32_e32 v46, vcc, s4, v46
	v_addc_co_u32_e32 v47, vcc, v47, v52, vcc
	v_fma_f64 v[44:45], v[40:41], v[56:57], v[44:45]
	v_fma_f64 v[48:49], v[40:41], v[58:59], -v[42:43]
	ds_read_b128 v[40:43], v213 offset:2688
	s_waitcnt lgkmcnt(1)
	v_mul_f64 v[50:51], v[38:39], v[30:31]
	v_mul_f64 v[38:39], v[38:39], v[28:29]
	global_store_dwordx4 v[46:47], v[8:11], off
	v_fma_f64 v[28:29], v[36:37], v[28:29], v[50:51]
	buffer_load_dword v51, off, s[28:31], 0 ; 4-byte Folded Reload
	v_mul_f64 v[8:9], v[44:45], s[0:1]
	v_mul_f64 v[10:11], v[48:49], s[0:1]
	v_mov_b32_e32 v45, s2
	v_add_co_u32_e32 v44, vcc, s3, v46
	v_addc_co_u32_e32 v45, vcc, v47, v45, vcc
	v_fma_f64 v[30:31], v[36:37], v[30:31], -v[38:39]
	ds_read_b128 v[36:39], v213 offset:8064
	global_store_dwordx4 v[44:45], v[8:11], off
	ds_read_b128 v[8:11], v213 offset:7168
	v_mul_f64 v[28:29], v[28:29], s[0:1]
	v_mov_b32_e32 v50, s5
	v_add_co_u32_e32 v44, vcc, s4, v44
	s_waitcnt lgkmcnt(0)
	v_mul_f64 v[46:47], v[26:27], v[10:11]
	v_mul_f64 v[26:27], v[26:27], v[8:9]
	;; [unrolled: 1-line block ×3, first 2 shown]
	v_addc_co_u32_e32 v45, vcc, v45, v50, vcc
	v_fma_f64 v[8:9], v[24:25], v[8:9], v[46:47]
	v_fma_f64 v[10:11], v[24:25], v[10:11], -v[26:27]
	v_mul_f64 v[25:26], v[22:23], v[42:43]
	v_mul_f64 v[22:23], v[22:23], v[40:41]
	global_store_dwordx4 v[44:45], v[28:31], off
	v_mul_f64 v[8:9], v[8:9], s[0:1]
	v_mul_f64 v[10:11], v[10:11], s[0:1]
	s_waitcnt vmcnt(2)
	v_mad_u64_u32 v[48:49], s[6:7], s8, v51, 0
	v_mov_b32_e32 v24, v49
	v_mad_u64_u32 v[46:47], s[6:7], s9, v51, v[24:25]
	v_fma_f64 v[24:25], v[20:21], v[40:41], v[25:26]
	v_fma_f64 v[20:21], v[20:21], v[42:43], -v[22:23]
	v_mov_b32_e32 v49, v46
	v_lshlrev_b64 v[27:28], 4, v[48:49]
	v_add_co_u32_e32 v22, vcc, v62, v27
	v_addc_co_u32_e32 v23, vcc, v63, v28, vcc
	global_store_dwordx4 v[22:23], v[8:11], off
	v_mul_f64 v[22:23], v[18:19], v[38:39]
	v_mul_f64 v[26:27], v[18:19], v[36:37]
	v_mov_b32_e32 v18, 0x380
	v_mul_f64 v[8:9], v[24:25], s[0:1]
	v_mul_f64 v[10:11], v[20:21], s[0:1]
	v_mad_u64_u32 v[30:31], s[6:7], s8, v18, v[44:45]
	ds_read_b128 v[18:21], v213 offset:3584
	v_fma_f64 v[28:29], v[16:17], v[36:37], v[22:23]
	ds_read_b128 v[22:25], v213 offset:4480
	v_fma_f64 v[16:17], v[16:17], v[38:39], -v[26:27]
	s_mul_i32 s6, s9, 0x380
	s_waitcnt lgkmcnt(1)
	v_mul_f64 v[36:37], v[2:3], v[20:21]
	v_mul_f64 v[2:3], v[2:3], v[18:19]
	v_add_u32_e32 v31, s6, v31
	global_store_dwordx4 v[30:31], v[8:11], off
	v_mov_b32_e32 v38, s2
	v_mul_f64 v[8:9], v[28:29], s[0:1]
	ds_read_b128 v[26:29], v213 offset:8960
	v_mul_f64 v[10:11], v[16:17], s[0:1]
	v_fma_f64 v[16:17], v[0:1], v[18:19], v[36:37]
	v_fma_f64 v[18:19], v[0:1], v[20:21], -v[2:3]
	ds_read_b128 v[0:3], v213 offset:9856
	s_waitcnt lgkmcnt(1)
	v_mul_f64 v[20:21], v[6:7], v[28:29]
	v_mul_f64 v[36:37], v[6:7], v[26:27]
	v_add_co_u32_e32 v30, vcc, s3, v30
	v_addc_co_u32_e32 v31, vcc, v31, v38, vcc
	global_store_dwordx4 v[30:31], v[8:11], off
	v_mul_f64 v[6:7], v[16:17], s[0:1]
	v_mul_f64 v[8:9], v[18:19], s[0:1]
	v_fma_f64 v[10:11], v[4:5], v[26:27], v[20:21]
	v_mul_f64 v[20:21], v[14:15], v[24:25]
	v_mul_f64 v[14:15], v[14:15], v[22:23]
	v_fma_f64 v[16:17], v[4:5], v[28:29], -v[36:37]
	s_waitcnt lgkmcnt(0)
	v_mul_f64 v[26:27], v[34:35], v[2:3]
	v_mul_f64 v[28:29], v[34:35], v[0:1]
	v_mov_b32_e32 v19, s5
	v_add_co_u32_e32 v18, vcc, s4, v30
	v_addc_co_u32_e32 v19, vcc, v31, v19, vcc
	global_store_dwordx4 v[18:19], v[6:9], off
	v_mul_f64 v[4:5], v[10:11], s[0:1]
	v_fma_f64 v[8:9], v[12:13], v[22:23], v[20:21]
	v_fma_f64 v[10:11], v[12:13], v[24:25], -v[14:15]
	v_mul_f64 v[6:7], v[16:17], s[0:1]
	v_fma_f64 v[12:13], v[32:33], v[0:1], v[26:27]
	v_fma_f64 v[14:15], v[32:33], v[2:3], -v[28:29]
	v_mov_b32_e32 v17, s2
	v_add_co_u32_e32 v16, vcc, s3, v18
	v_mul_f64 v[0:1], v[8:9], s[0:1]
	v_mul_f64 v[2:3], v[10:11], s[0:1]
	v_addc_co_u32_e32 v17, vcc, v19, v17, vcc
	global_store_dwordx4 v[16:17], v[4:7], off
	v_mov_b32_e32 v9, s5
	v_mul_f64 v[4:5], v[12:13], s[0:1]
	v_mul_f64 v[6:7], v[14:15], s[0:1]
	v_add_co_u32_e32 v8, vcc, s4, v16
	v_addc_co_u32_e32 v9, vcc, v17, v9, vcc
	global_store_dwordx4 v[8:9], v[0:3], off
	s_nop 0
	v_mov_b32_e32 v1, s2
	v_add_co_u32_e32 v0, vcc, s3, v8
	v_addc_co_u32_e32 v1, vcc, v9, v1, vcc
	global_store_dwordx4 v[0:1], v[4:7], off
.LBB0_10:
	s_endpgm
	.section	.rodata,"a",@progbits
	.p2align	6, 0x0
	.amdhsa_kernel bluestein_single_back_len672_dim1_dp_op_CI_CI
		.amdhsa_group_segment_fixed_size 10752
		.amdhsa_private_segment_fixed_size 88
		.amdhsa_kernarg_size 104
		.amdhsa_user_sgpr_count 6
		.amdhsa_user_sgpr_private_segment_buffer 1
		.amdhsa_user_sgpr_dispatch_ptr 0
		.amdhsa_user_sgpr_queue_ptr 0
		.amdhsa_user_sgpr_kernarg_segment_ptr 1
		.amdhsa_user_sgpr_dispatch_id 0
		.amdhsa_user_sgpr_flat_scratch_init 0
		.amdhsa_user_sgpr_private_segment_size 0
		.amdhsa_uses_dynamic_stack 0
		.amdhsa_system_sgpr_private_segment_wavefront_offset 1
		.amdhsa_system_sgpr_workgroup_id_x 1
		.amdhsa_system_sgpr_workgroup_id_y 0
		.amdhsa_system_sgpr_workgroup_id_z 0
		.amdhsa_system_sgpr_workgroup_info 0
		.amdhsa_system_vgpr_workitem_id 0
		.amdhsa_next_free_vgpr 256
		.amdhsa_next_free_sgpr 32
		.amdhsa_reserve_vcc 1
		.amdhsa_reserve_flat_scratch 0
		.amdhsa_float_round_mode_32 0
		.amdhsa_float_round_mode_16_64 0
		.amdhsa_float_denorm_mode_32 3
		.amdhsa_float_denorm_mode_16_64 3
		.amdhsa_dx10_clamp 1
		.amdhsa_ieee_mode 1
		.amdhsa_fp16_overflow 0
		.amdhsa_exception_fp_ieee_invalid_op 0
		.amdhsa_exception_fp_denorm_src 0
		.amdhsa_exception_fp_ieee_div_zero 0
		.amdhsa_exception_fp_ieee_overflow 0
		.amdhsa_exception_fp_ieee_underflow 0
		.amdhsa_exception_fp_ieee_inexact 0
		.amdhsa_exception_int_div_zero 0
	.end_amdhsa_kernel
	.text
.Lfunc_end0:
	.size	bluestein_single_back_len672_dim1_dp_op_CI_CI, .Lfunc_end0-bluestein_single_back_len672_dim1_dp_op_CI_CI
                                        ; -- End function
	.section	.AMDGPU.csdata,"",@progbits
; Kernel info:
; codeLenInByte = 16340
; NumSgprs: 36
; NumVgprs: 256
; ScratchSize: 88
; MemoryBound: 0
; FloatMode: 240
; IeeeMode: 1
; LDSByteSize: 10752 bytes/workgroup (compile time only)
; SGPRBlocks: 4
; VGPRBlocks: 63
; NumSGPRsForWavesPerEU: 36
; NumVGPRsForWavesPerEU: 256
; Occupancy: 1
; WaveLimiterHint : 1
; COMPUTE_PGM_RSRC2:SCRATCH_EN: 1
; COMPUTE_PGM_RSRC2:USER_SGPR: 6
; COMPUTE_PGM_RSRC2:TRAP_HANDLER: 0
; COMPUTE_PGM_RSRC2:TGID_X_EN: 1
; COMPUTE_PGM_RSRC2:TGID_Y_EN: 0
; COMPUTE_PGM_RSRC2:TGID_Z_EN: 0
; COMPUTE_PGM_RSRC2:TIDIG_COMP_CNT: 0
	.type	__hip_cuid_2a657d4d606017ce,@object ; @__hip_cuid_2a657d4d606017ce
	.section	.bss,"aw",@nobits
	.globl	__hip_cuid_2a657d4d606017ce
__hip_cuid_2a657d4d606017ce:
	.byte	0                               ; 0x0
	.size	__hip_cuid_2a657d4d606017ce, 1

	.ident	"AMD clang version 19.0.0git (https://github.com/RadeonOpenCompute/llvm-project roc-6.4.0 25133 c7fe45cf4b819c5991fe208aaa96edf142730f1d)"
	.section	".note.GNU-stack","",@progbits
	.addrsig
	.addrsig_sym __hip_cuid_2a657d4d606017ce
	.amdgpu_metadata
---
amdhsa.kernels:
  - .args:
      - .actual_access:  read_only
        .address_space:  global
        .offset:         0
        .size:           8
        .value_kind:     global_buffer
      - .actual_access:  read_only
        .address_space:  global
        .offset:         8
        .size:           8
        .value_kind:     global_buffer
      - .actual_access:  read_only
        .address_space:  global
        .offset:         16
        .size:           8
        .value_kind:     global_buffer
      - .actual_access:  read_only
        .address_space:  global
        .offset:         24
        .size:           8
        .value_kind:     global_buffer
      - .actual_access:  read_only
        .address_space:  global
        .offset:         32
        .size:           8
        .value_kind:     global_buffer
      - .offset:         40
        .size:           8
        .value_kind:     by_value
      - .address_space:  global
        .offset:         48
        .size:           8
        .value_kind:     global_buffer
      - .address_space:  global
        .offset:         56
        .size:           8
        .value_kind:     global_buffer
      - .address_space:  global
        .offset:         64
        .size:           8
        .value_kind:     global_buffer
      - .address_space:  global
        .offset:         72
        .size:           8
        .value_kind:     global_buffer
      - .offset:         80
        .size:           4
        .value_kind:     by_value
      - .address_space:  global
        .offset:         88
        .size:           8
        .value_kind:     global_buffer
      - .address_space:  global
        .offset:         96
        .size:           8
        .value_kind:     global_buffer
    .group_segment_fixed_size: 10752
    .kernarg_segment_align: 8
    .kernarg_segment_size: 104
    .language:       OpenCL C
    .language_version:
      - 2
      - 0
    .max_flat_workgroup_size: 56
    .name:           bluestein_single_back_len672_dim1_dp_op_CI_CI
    .private_segment_fixed_size: 88
    .sgpr_count:     36
    .sgpr_spill_count: 0
    .symbol:         bluestein_single_back_len672_dim1_dp_op_CI_CI.kd
    .uniform_work_group_size: 1
    .uses_dynamic_stack: false
    .vgpr_count:     256
    .vgpr_spill_count: 21
    .wavefront_size: 64
amdhsa.target:   amdgcn-amd-amdhsa--gfx906
amdhsa.version:
  - 1
  - 2
...

	.end_amdgpu_metadata
